;; amdgpu-corpus repo=ROCm/rocFFT kind=compiled arch=gfx950 opt=O3
	.text
	.amdgcn_target "amdgcn-amd-amdhsa--gfx950"
	.amdhsa_code_object_version 6
	.protected	fft_rtc_fwd_len1716_factors_13_2_6_11_wgs_156_tpt_156_sp_ip_CI_sbrr_dirReg ; -- Begin function fft_rtc_fwd_len1716_factors_13_2_6_11_wgs_156_tpt_156_sp_ip_CI_sbrr_dirReg
	.globl	fft_rtc_fwd_len1716_factors_13_2_6_11_wgs_156_tpt_156_sp_ip_CI_sbrr_dirReg
	.p2align	8
	.type	fft_rtc_fwd_len1716_factors_13_2_6_11_wgs_156_tpt_156_sp_ip_CI_sbrr_dirReg,@function
fft_rtc_fwd_len1716_factors_13_2_6_11_wgs_156_tpt_156_sp_ip_CI_sbrr_dirReg: ; @fft_rtc_fwd_len1716_factors_13_2_6_11_wgs_156_tpt_156_sp_ip_CI_sbrr_dirReg
; %bb.0:
	s_load_dwordx2 s[12:13], s[0:1], 0x18
	s_load_dwordx4 s[4:7], s[0:1], 0x0
	s_load_dwordx2 s[10:11], s[0:1], 0x50
	v_mul_u32_u24_e32 v1, 0x1a5, v0
	v_add_u32_sdwa v6, s2, v1 dst_sel:DWORD dst_unused:UNUSED_PAD src0_sel:DWORD src1_sel:WORD_1
	s_waitcnt lgkmcnt(0)
	s_load_dwordx2 s[8:9], s[12:13], 0x0
	v_mov_b32_e32 v4, 0
	v_cmp_lt_u64_e64 s[2:3], s[6:7], 2
	v_mov_b32_e32 v7, v4
	s_and_b64 vcc, exec, s[2:3]
	v_mov_b64_e32 v[2:3], 0
	s_cbranch_vccnz .LBB0_8
; %bb.1:
	s_load_dwordx2 s[2:3], s[0:1], 0x10
	s_add_u32 s14, s12, 8
	s_addc_u32 s15, s13, 0
	s_mov_b64 s[16:17], 1
	v_mov_b64_e32 v[2:3], 0
	s_waitcnt lgkmcnt(0)
	s_add_u32 s18, s2, 8
	s_addc_u32 s19, s3, 0
.LBB0_2:                                ; =>This Inner Loop Header: Depth=1
	s_load_dwordx2 s[20:21], s[18:19], 0x0
                                        ; implicit-def: $vgpr8_vgpr9
	s_waitcnt lgkmcnt(0)
	v_or_b32_e32 v5, s21, v7
	v_cmp_ne_u64_e32 vcc, 0, v[4:5]
	s_and_saveexec_b64 s[2:3], vcc
	s_xor_b64 s[22:23], exec, s[2:3]
	s_cbranch_execz .LBB0_4
; %bb.3:                                ;   in Loop: Header=BB0_2 Depth=1
	v_cvt_f32_u32_e32 v1, s20
	v_cvt_f32_u32_e32 v5, s21
	s_sub_u32 s2, 0, s20
	s_subb_u32 s3, 0, s21
	v_fmac_f32_e32 v1, 0x4f800000, v5
	v_rcp_f32_e32 v1, v1
	s_nop 0
	v_mul_f32_e32 v1, 0x5f7ffffc, v1
	v_mul_f32_e32 v5, 0x2f800000, v1
	v_trunc_f32_e32 v5, v5
	v_fmac_f32_e32 v1, 0xcf800000, v5
	v_cvt_u32_f32_e32 v5, v5
	v_cvt_u32_f32_e32 v1, v1
	v_mul_lo_u32 v8, s2, v5
	v_mul_hi_u32 v10, s2, v1
	v_mul_lo_u32 v9, s3, v1
	v_add_u32_e32 v10, v10, v8
	v_mul_lo_u32 v12, s2, v1
	v_add_u32_e32 v13, v10, v9
	v_mul_hi_u32 v8, v1, v12
	v_mul_hi_u32 v11, v1, v13
	v_mul_lo_u32 v10, v1, v13
	v_mov_b32_e32 v9, v4
	v_lshl_add_u64 v[8:9], v[8:9], 0, v[10:11]
	v_mul_hi_u32 v11, v5, v12
	v_mul_lo_u32 v12, v5, v12
	v_add_co_u32_e32 v8, vcc, v8, v12
	v_mul_hi_u32 v10, v5, v13
	s_nop 0
	v_addc_co_u32_e32 v8, vcc, v9, v11, vcc
	v_mov_b32_e32 v9, v4
	s_nop 0
	v_addc_co_u32_e32 v11, vcc, 0, v10, vcc
	v_mul_lo_u32 v10, v5, v13
	v_lshl_add_u64 v[8:9], v[8:9], 0, v[10:11]
	v_add_co_u32_e32 v1, vcc, v1, v8
	v_mul_lo_u32 v10, s2, v1
	s_nop 0
	v_addc_co_u32_e32 v5, vcc, v5, v9, vcc
	v_mul_lo_u32 v8, s2, v5
	v_mul_hi_u32 v9, s2, v1
	v_add_u32_e32 v8, v9, v8
	v_mul_lo_u32 v9, s3, v1
	v_add_u32_e32 v12, v8, v9
	v_mul_hi_u32 v14, v5, v10
	v_mul_lo_u32 v15, v5, v10
	v_mul_hi_u32 v9, v1, v12
	v_mul_lo_u32 v8, v1, v12
	v_mul_hi_u32 v10, v1, v10
	v_mov_b32_e32 v11, v4
	v_lshl_add_u64 v[8:9], v[10:11], 0, v[8:9]
	v_add_co_u32_e32 v8, vcc, v8, v15
	v_mul_hi_u32 v13, v5, v12
	s_nop 0
	v_addc_co_u32_e32 v8, vcc, v9, v14, vcc
	v_mul_lo_u32 v10, v5, v12
	s_nop 0
	v_addc_co_u32_e32 v11, vcc, 0, v13, vcc
	v_mov_b32_e32 v9, v4
	v_lshl_add_u64 v[8:9], v[8:9], 0, v[10:11]
	v_add_co_u32_e32 v1, vcc, v1, v8
	v_mul_hi_u32 v10, v6, v1
	s_nop 0
	v_addc_co_u32_e32 v5, vcc, v5, v9, vcc
	v_mad_u64_u32 v[8:9], s[2:3], v6, v5, 0
	v_mov_b32_e32 v11, v4
	v_lshl_add_u64 v[8:9], v[10:11], 0, v[8:9]
	v_mad_u64_u32 v[12:13], s[2:3], v7, v1, 0
	v_add_co_u32_e32 v1, vcc, v8, v12
	v_mad_u64_u32 v[10:11], s[2:3], v7, v5, 0
	s_nop 0
	v_addc_co_u32_e32 v8, vcc, v9, v13, vcc
	v_mov_b32_e32 v9, v4
	s_nop 0
	v_addc_co_u32_e32 v11, vcc, 0, v11, vcc
	v_lshl_add_u64 v[8:9], v[8:9], 0, v[10:11]
	v_mul_lo_u32 v1, s21, v8
	v_mul_lo_u32 v5, s20, v9
	v_mad_u64_u32 v[10:11], s[2:3], s20, v8, 0
	v_add3_u32 v1, v11, v5, v1
	v_sub_u32_e32 v5, v7, v1
	v_mov_b32_e32 v11, s21
	v_sub_co_u32_e32 v14, vcc, v6, v10
	v_lshl_add_u64 v[12:13], v[8:9], 0, 1
	s_nop 0
	v_subb_co_u32_e64 v5, s[2:3], v5, v11, vcc
	v_subrev_co_u32_e64 v10, s[2:3], s20, v14
	v_subb_co_u32_e32 v1, vcc, v7, v1, vcc
	s_nop 0
	v_subbrev_co_u32_e64 v5, s[2:3], 0, v5, s[2:3]
	v_cmp_le_u32_e64 s[2:3], s21, v5
	v_cmp_le_u32_e32 vcc, s21, v1
	s_nop 0
	v_cndmask_b32_e64 v11, 0, -1, s[2:3]
	v_cmp_le_u32_e64 s[2:3], s20, v10
	s_nop 1
	v_cndmask_b32_e64 v10, 0, -1, s[2:3]
	v_cmp_eq_u32_e64 s[2:3], s21, v5
	s_nop 1
	v_cndmask_b32_e64 v5, v11, v10, s[2:3]
	v_lshl_add_u64 v[10:11], v[8:9], 0, 2
	v_cmp_ne_u32_e64 s[2:3], 0, v5
	s_nop 1
	v_cndmask_b32_e64 v5, v13, v11, s[2:3]
	v_cndmask_b32_e64 v11, 0, -1, vcc
	v_cmp_le_u32_e32 vcc, s20, v14
	s_nop 1
	v_cndmask_b32_e64 v13, 0, -1, vcc
	v_cmp_eq_u32_e32 vcc, s21, v1
	s_nop 1
	v_cndmask_b32_e32 v1, v11, v13, vcc
	v_cmp_ne_u32_e32 vcc, 0, v1
	v_cndmask_b32_e64 v1, v12, v10, s[2:3]
	s_nop 0
	v_cndmask_b32_e32 v9, v9, v5, vcc
	v_cndmask_b32_e32 v8, v8, v1, vcc
.LBB0_4:                                ;   in Loop: Header=BB0_2 Depth=1
	s_andn2_saveexec_b64 s[2:3], s[22:23]
	s_cbranch_execz .LBB0_6
; %bb.5:                                ;   in Loop: Header=BB0_2 Depth=1
	v_cvt_f32_u32_e32 v1, s20
	s_sub_i32 s22, 0, s20
	v_rcp_iflag_f32_e32 v1, v1
	s_nop 0
	v_mul_f32_e32 v1, 0x4f7ffffe, v1
	v_cvt_u32_f32_e32 v1, v1
	v_mul_lo_u32 v5, s22, v1
	v_mul_hi_u32 v5, v1, v5
	v_add_u32_e32 v1, v1, v5
	v_mul_hi_u32 v1, v6, v1
	v_mul_lo_u32 v5, v1, s20
	v_sub_u32_e32 v5, v6, v5
	v_add_u32_e32 v8, 1, v1
	v_subrev_u32_e32 v9, s20, v5
	v_cmp_le_u32_e32 vcc, s20, v5
	s_nop 1
	v_cndmask_b32_e32 v5, v5, v9, vcc
	v_cndmask_b32_e32 v1, v1, v8, vcc
	v_add_u32_e32 v8, 1, v1
	v_cmp_le_u32_e32 vcc, s20, v5
	v_mov_b32_e32 v9, v4
	s_nop 0
	v_cndmask_b32_e32 v8, v1, v8, vcc
.LBB0_6:                                ;   in Loop: Header=BB0_2 Depth=1
	s_or_b64 exec, exec, s[2:3]
	v_mad_u64_u32 v[10:11], s[2:3], v8, s20, 0
	s_load_dwordx2 s[2:3], s[14:15], 0x0
	v_mul_lo_u32 v1, v9, s20
	v_mul_lo_u32 v5, v8, s21
	v_add3_u32 v1, v11, v5, v1
	v_sub_co_u32_e32 v5, vcc, v6, v10
	s_add_u32 s16, s16, 1
	s_nop 0
	v_subb_co_u32_e32 v1, vcc, v7, v1, vcc
	s_addc_u32 s17, s17, 0
	s_waitcnt lgkmcnt(0)
	v_mul_lo_u32 v1, s2, v1
	v_mul_lo_u32 v6, s3, v5
	v_mad_u64_u32 v[2:3], s[2:3], s2, v5, v[2:3]
	s_add_u32 s14, s14, 8
	v_add3_u32 v3, v6, v3, v1
	s_addc_u32 s15, s15, 0
	v_mov_b64_e32 v[6:7], s[6:7]
	s_add_u32 s18, s18, 8
	v_cmp_ge_u64_e32 vcc, s[16:17], v[6:7]
	s_addc_u32 s19, s19, 0
	s_cbranch_vccnz .LBB0_9
; %bb.7:                                ;   in Loop: Header=BB0_2 Depth=1
	v_mov_b64_e32 v[6:7], v[8:9]
	s_branch .LBB0_2
.LBB0_8:
	v_mov_b64_e32 v[8:9], v[6:7]
.LBB0_9:
	s_lshl_b64 s[2:3], s[6:7], 3
	s_add_u32 s2, s12, s2
	s_addc_u32 s3, s13, s3
	s_load_dwordx2 s[6:7], s[2:3], 0x0
	s_load_dwordx2 s[12:13], s[0:1], 0x20
	v_mov_b32_e32 v105, 0
                                        ; implicit-def: $vgpr26
                                        ; implicit-def: $vgpr28
                                        ; implicit-def: $vgpr30
                                        ; implicit-def: $vgpr32
                                        ; implicit-def: $vgpr34
                                        ; implicit-def: $vgpr14
                                        ; implicit-def: $vgpr36
                                        ; implicit-def: $vgpr38
                                        ; implicit-def: $vgpr40
                                        ; implicit-def: $vgpr42
                                        ; implicit-def: $vgpr22
                                        ; implicit-def: $vgpr24
	s_waitcnt lgkmcnt(0)
	v_mad_u64_u32 v[16:17], s[0:1], s6, v8, v[2:3]
	v_mul_lo_u32 v1, s6, v9
	v_mul_lo_u32 v4, s7, v8
	s_mov_b32 s0, 0x1a41a42
	v_add3_u32 v17, v4, v17, v1
	v_mul_hi_u32 v1, v0, s0
	v_mul_u32_u24_e32 v1, 0x9c, v1
	v_sub_u32_e32 v104, v0, v1
	v_mov_b32_e32 v0, 0
	v_cmp_gt_u64_e32 vcc, s[12:13], v[8:9]
	v_mov_b32_e32 v1, v0
	s_and_saveexec_b64 s[2:3], vcc
	s_cbranch_execz .LBB0_13
; %bb.10:
	s_movk_i32 s0, 0x84
	v_cmp_gt_u32_e64 s[0:1], s0, v104
	v_mov_b32_e32 v1, 0
	v_mov_b32_e32 v0, 0
                                        ; implicit-def: $vgpr25
                                        ; implicit-def: $vgpr23
                                        ; implicit-def: $vgpr43
                                        ; implicit-def: $vgpr41
                                        ; implicit-def: $vgpr39
                                        ; implicit-def: $vgpr37
                                        ; implicit-def: $vgpr15
                                        ; implicit-def: $vgpr35
                                        ; implicit-def: $vgpr33
                                        ; implicit-def: $vgpr31
                                        ; implicit-def: $vgpr29
                                        ; implicit-def: $vgpr27
	s_and_saveexec_b64 s[6:7], s[0:1]
	s_cbranch_execz .LBB0_12
; %bb.11:
	v_mad_u64_u32 v[0:1], s[0:1], s8, v104, 0
	v_mov_b32_e32 v2, v1
	v_mad_u64_u32 v[2:3], s[0:1], s9, v104, v[2:3]
	v_mov_b32_e32 v1, v2
	v_lshl_add_u64 v[2:3], v[16:17], 3, s[10:11]
	v_add_u32_e32 v7, 0x84, v104
	v_lshl_add_u64 v[4:5], v[0:1], 3, v[2:3]
	v_mad_u64_u32 v[0:1], s[0:1], s8, v7, 0
	v_mov_b32_e32 v6, v1
	v_mad_u64_u32 v[6:7], s[0:1], s9, v7, v[6:7]
	v_mov_b32_e32 v1, v6
	v_add_u32_e32 v9, 0x108, v104
	v_lshl_add_u64 v[6:7], v[0:1], 3, v[2:3]
	v_mad_u64_u32 v[0:1], s[0:1], s8, v9, 0
	v_mov_b32_e32 v8, v1
	v_mad_u64_u32 v[8:9], s[0:1], s9, v9, v[8:9]
	v_mov_b32_e32 v1, v8
	;; [unrolled: 6-line block ×3, first 2 shown]
	v_lshl_add_u64 v[10:11], v[0:1], 3, v[2:3]
	global_load_dwordx2 v[0:1], v[4:5], off
	global_load_dwordx2 v[24:25], v[6:7], off
	;; [unrolled: 1-line block ×4, first 2 shown]
	v_add_u32_e32 v7, 0x210, v104
	v_mad_u64_u32 v[4:5], s[0:1], s8, v7, 0
	v_mov_b32_e32 v6, v5
	v_mad_u64_u32 v[6:7], s[0:1], s9, v7, v[6:7]
	v_add_u32_e32 v9, 0x294, v104
	v_mov_b32_e32 v5, v6
	v_mad_u64_u32 v[6:7], s[0:1], s8, v9, 0
	v_mov_b32_e32 v8, v7
	v_mad_u64_u32 v[8:9], s[0:1], s9, v9, v[8:9]
	v_add_u32_e32 v11, 0x318, v104
	v_mov_b32_e32 v7, v8
	v_mad_u64_u32 v[8:9], s[0:1], s8, v11, 0
	v_mov_b32_e32 v10, v9
	v_mad_u64_u32 v[10:11], s[0:1], s9, v11, v[10:11]
	v_add_u32_e32 v13, 0x39c, v104
	v_mov_b32_e32 v9, v10
	v_mad_u64_u32 v[10:11], s[0:1], s8, v13, 0
	v_mov_b32_e32 v12, v11
	v_mad_u64_u32 v[12:13], s[0:1], s9, v13, v[12:13]
	v_add_u32_e32 v19, 0x420, v104
	v_mov_b32_e32 v11, v12
	v_mad_u64_u32 v[12:13], s[0:1], s8, v19, 0
	v_mov_b32_e32 v18, v13
	v_mad_u64_u32 v[18:19], s[0:1], s9, v19, v[18:19]
	v_add_u32_e32 v21, 0x4a4, v104
	v_mov_b32_e32 v13, v18
	v_mad_u64_u32 v[18:19], s[0:1], s8, v21, 0
	v_mov_b32_e32 v20, v19
	v_mad_u64_u32 v[20:21], s[0:1], s9, v21, v[20:21]
	v_add_u32_e32 v27, 0x528, v104
	v_mov_b32_e32 v19, v20
	v_mad_u64_u32 v[20:21], s[0:1], s8, v27, 0
	v_mov_b32_e32 v26, v21
	v_mad_u64_u32 v[26:27], s[0:1], s9, v27, v[26:27]
	v_add_u32_e32 v29, 0x5ac, v104
	v_mov_b32_e32 v21, v26
	v_mad_u64_u32 v[26:27], s[0:1], s8, v29, 0
	v_mov_b32_e32 v28, v27
	v_mad_u64_u32 v[28:29], s[0:1], s9, v29, v[28:29]
	v_mov_b32_e32 v27, v28
	v_add_u32_e32 v29, 0x630, v104
	v_lshl_add_u64 v[44:45], v[26:27], 3, v[2:3]
	v_mad_u64_u32 v[26:27], s[0:1], s8, v29, 0
	v_mov_b32_e32 v28, v27
	v_mad_u64_u32 v[28:29], s[0:1], s9, v29, v[28:29]
	v_lshl_add_u64 v[4:5], v[4:5], 3, v[2:3]
	v_mov_b32_e32 v27, v28
	v_lshl_add_u64 v[6:7], v[6:7], 3, v[2:3]
	v_lshl_add_u64 v[8:9], v[8:9], 3, v[2:3]
	;; [unrolled: 1-line block ×7, first 2 shown]
	global_load_dwordx2 v[36:37], v[4:5], off
	global_load_dwordx2 v[38:39], v[6:7], off
	;; [unrolled: 1-line block ×9, first 2 shown]
.LBB0_12:
	s_or_b64 exec, exec, s[6:7]
	v_mov_b32_e32 v105, v104
.LBB0_13:
	s_or_b64 exec, exec, s[2:3]
	s_waitcnt vmcnt(0)
	v_pk_add_f32 v[44:45], v[24:25], v[26:27]
	v_pk_add_f32 v[4:5], v[24:25], v[26:27] neg_lo:[0,1] neg_hi:[0,1]
	v_pk_add_f32 v[2:3], v[24:25], v[26:27]
	v_mov_b32_e32 v45, v4
	v_mov_b32_e32 v2, v5
	v_pk_add_f32 v[46:47], v[22:23], v[28:29]
	v_pk_add_f32 v[6:7], v[22:23], v[28:29] neg_lo:[0,1] neg_hi:[0,1]
	v_pk_add_f32 v[4:5], v[22:23], v[28:29]
	v_mov_b32_e32 v47, v6
	v_mov_b32_e32 v4, v7
	v_pk_add_f32 v[48:49], v[14:15], v[30:31]
	v_pk_add_f32 v[8:9], v[14:15], v[30:31] neg_lo:[0,1] neg_hi:[0,1]
	v_pk_add_f32 v[6:7], v[14:15], v[30:31]
	s_mov_b32 s2, 0xbf52af12
	v_mov_b32_e32 v49, v8
	v_mov_b32_e32 v6, v9
	v_pk_add_f32 v[50:51], v[36:37], v[32:33]
	v_pk_add_f32 v[10:11], v[36:37], v[32:33] neg_lo:[0,1] neg_hi:[0,1]
	v_pk_add_f32 v[8:9], v[36:37], v[32:33]
	s_mov_b32 s3, 0x3f116cb1
	s_mov_b32 s6, 0xbf6f5d39
	v_mov_b32_e32 v51, v10
	v_mov_b32_e32 v8, v11
	v_pk_add_f32 v[52:53], v[38:39], v[34:35]
	v_pk_add_f32 v[12:13], v[38:39], v[34:35] neg_lo:[0,1] neg_hi:[0,1]
	v_pk_add_f32 v[10:11], v[38:39], v[34:35]
	s_mov_b32 s34, s3
	s_mov_b32 s35, s2
	;; [unrolled: 1-line block ×3, first 2 shown]
	v_mov_b32_e32 v53, v12
	v_mov_b32_e32 v10, v13
	v_pk_add_f32 v[54:55], v[40:41], v[42:43]
	v_pk_add_f32 v[18:19], v[40:41], v[42:43] neg_lo:[0,1] neg_hi:[0,1]
	v_pk_add_f32 v[12:13], v[40:41], v[42:43]
	v_pk_mul_f32 v[58:59], v[44:45], s[34:35]
	s_mov_b32 s26, s7
	s_mov_b32 s27, s6
	;; [unrolled: 1-line block ×3, first 2 shown]
	v_mov_b32_e32 v55, v18
	v_mov_b32_e32 v12, v19
	v_pk_fma_f32 v[56:57], v[2:3], s[2:3], v[58:59]
	v_pk_fma_f32 v[18:19], v[2:3], s[2:3], v[58:59] neg_lo:[0,0,1] neg_hi:[0,0,1]
	v_pk_mul_f32 v[62:63], v[46:47], s[26:27]
	s_mov_b32 s13, 0xbf788fa5
	v_mov_b32_e32 v18, v56
	v_pk_fma_f32 v[60:61], v[4:5], s[6:7], v[62:63]
	v_pk_fma_f32 v[20:21], v[4:5], s[6:7], v[62:63] neg_lo:[0,0,1] neg_hi:[0,0,1]
	s_mov_b32 s30, s13
	s_mov_b32 s31, s12
	;; [unrolled: 1-line block ×3, first 2 shown]
	v_pk_add_f32 v[18:19], v[0:1], v[18:19]
	v_mov_b32_e32 v20, v60
	v_pk_mul_f32 v[66:67], v[48:49], s[30:31]
	s_mov_b32 s17, 0xbf3f9e67
	v_pk_add_f32 v[18:19], v[18:19], v[20:21]
	v_pk_fma_f32 v[64:65], v[6:7], s[12:13], v[66:67]
	v_pk_fma_f32 v[20:21], v[6:7], s[12:13], v[66:67] neg_lo:[0,0,1] neg_hi:[0,0,1]
	s_mov_b32 s40, s17
	s_mov_b32 s41, s16
	;; [unrolled: 1-line block ×3, first 2 shown]
	v_mov_b32_e32 v20, v64
	v_pk_mul_f32 v[70:71], v[50:51], s[40:41]
	s_mov_b32 s25, 0x3df6dbef
	v_pk_add_f32 v[18:19], v[20:21], v[18:19]
	v_pk_fma_f32 v[68:69], v[8:9], s[16:17], v[70:71]
	v_pk_fma_f32 v[20:21], v[8:9], s[16:17], v[70:71] neg_lo:[0,0,1] neg_hi:[0,0,1]
	s_mov_b32 s28, s25
	s_mov_b32 s29, s24
	;; [unrolled: 1-line block ×3, first 2 shown]
	v_mov_b32_e32 v20, v68
	v_pk_mul_f32 v[74:75], v[52:53], s[28:29]
	s_mov_b32 s19, 0x3f62ad3f
	v_pk_add_f32 v[18:19], v[18:19], v[20:21]
	v_pk_fma_f32 v[72:73], v[10:11], s[24:25], v[74:75]
	v_pk_fma_f32 v[20:21], v[10:11], s[24:25], v[74:75] neg_lo:[0,0,1] neg_hi:[0,0,1]
	s_mov_b32 s36, s19
	s_mov_b32 s37, s18
	v_mov_b32_e32 v20, v72
	v_pk_mul_f32 v[78:79], v[54:55], s[36:37]
	s_mov_b32 s14, 0xbf7e222b
	v_pk_add_f32 v[18:19], v[18:19], v[20:21]
	v_pk_fma_f32 v[76:77], v[12:13], s[18:19], v[78:79]
	v_pk_fma_f32 v[20:21], v[12:13], s[18:19], v[78:79] neg_lo:[0,0,1] neg_hi:[0,0,1]
	s_mov_b32 s42, s25
	s_mov_b32 s43, s14
	v_mov_b32_e32 v20, v76
	s_mov_b32 s15, s25
	v_pk_mul_f32 v[82:83], v[44:45], s[42:43]
	v_pk_add_f32 v[18:19], v[18:19], v[20:21]
	v_pk_fma_f32 v[80:81], v[2:3], s[14:15], v[82:83]
	v_pk_fma_f32 v[20:21], v[2:3], s[14:15], v[82:83] neg_lo:[0,0,1] neg_hi:[0,0,1]
	v_pk_mul_f32 v[86:87], v[46:47], s[30:31]
	s_mov_b32 s44, 0x3f6f5d39
	v_mov_b32_e32 v20, v80
	v_pk_fma_f32 v[84:85], v[4:5], s[12:13], v[86:87]
	v_pk_fma_f32 v[88:89], v[4:5], s[12:13], v[86:87] neg_lo:[0,0,1] neg_hi:[0,0,1]
	s_mov_b32 s0, s7
	s_mov_b32 s1, s44
	v_pk_add_f32 v[20:21], v[0:1], v[20:21]
	v_mov_b32_e32 v88, v84
	s_mov_b32 s45, s7
	v_pk_mul_f32 v[90:91], v[48:49], s[0:1]
	v_pk_add_f32 v[20:21], v[20:21], v[88:89]
	v_pk_fma_f32 v[88:89], v[6:7], s[44:45], v[90:91]
	v_pk_fma_f32 v[92:93], v[6:7], s[44:45], v[90:91] neg_lo:[0,0,1] neg_hi:[0,0,1]
	v_pk_mul_f32 v[94:95], v[50:51], s[36:37]
	v_mov_b32_e32 v92, v88
	v_pk_add_f32 v[20:21], v[92:93], v[20:21]
	v_pk_fma_f32 v[92:93], v[8:9], s[18:19], v[94:95]
	v_pk_fma_f32 v[96:97], v[8:9], s[18:19], v[94:95] neg_lo:[0,0,1] neg_hi:[0,0,1]
	v_pk_mul_f32 v[98:99], v[52:53], s[34:35]
	v_mov_b32_e32 v96, v92
	s_mov_b32 s20, 0xbf29c268
	v_pk_add_f32 v[20:21], v[20:21], v[96:97]
	v_pk_fma_f32 v[96:97], v[10:11], s[2:3], v[98:99]
	v_pk_fma_f32 v[100:101], v[10:11], s[2:3], v[98:99] neg_lo:[0,0,1] neg_hi:[0,0,1]
	s_mov_b32 s38, s17
	s_mov_b32 s39, s20
	v_mov_b32_e32 v100, v96
	s_mov_b32 s21, s17
	v_pk_mul_f32 v[102:103], v[54:55], s[38:39]
	v_pk_add_f32 v[20:21], v[20:21], v[100:101]
	v_pk_fma_f32 v[100:101], v[12:13], s[20:21], v[102:103]
	v_pk_fma_f32 v[106:107], v[12:13], s[20:21], v[102:103] neg_lo:[0,0,1] neg_hi:[0,0,1]
	s_movk_i32 s0, 0x84
	v_mov_b32_e32 v106, v100
	v_pk_add_f32 v[20:21], v[20:21], v[106:107]
	v_cmp_gt_u32_e64 s[0:1], s0, v104
	s_and_saveexec_b64 s[22:23], s[0:1]
	s_cbranch_execz .LBB0_15
; %bb.14:
	v_pk_add_f32 v[24:25], v[0:1], v[24:25]
	s_mov_b32 s1, 0xbeedf032
	v_pk_add_f32 v[22:23], v[24:25], v[22:23]
	s_mov_b32 s0, s19
	v_pk_add_f32 v[14:15], v[22:23], v[14:15]
	v_pk_mul_f32 v[106:107], v[2:3], s[2:3]
	v_pk_add_f32 v[14:15], v[14:15], v[36:37]
	v_pk_mul_f32 v[108:109], v[4:5], s[6:7]
	v_pk_add_f32 v[14:15], v[14:15], v[38:39]
	v_pk_add_f32 v[58:59], v[58:59], v[106:107] neg_lo:[0,1] neg_hi:[0,1]
	v_pk_add_f32 v[14:15], v[14:15], v[40:41]
	v_pk_mul_f32 v[110:111], v[6:7], s[12:13]
	v_pk_add_f32 v[14:15], v[14:15], v[42:43]
	v_mov_b32_e32 v59, v57
	v_pk_add_f32 v[14:15], v[34:35], v[14:15]
	v_pk_add_f32 v[62:63], v[62:63], v[108:109] neg_lo:[0,1] neg_hi:[0,1]
	v_pk_add_f32 v[14:15], v[32:33], v[14:15]
	v_pk_add_f32 v[58:59], v[0:1], v[58:59]
	;; [unrolled: 1-line block ×3, first 2 shown]
	v_mov_b32_e32 v63, v61
	v_pk_add_f32 v[14:15], v[28:29], v[14:15]
	v_pk_add_f32 v[60:61], v[66:67], v[110:111] neg_lo:[0,1] neg_hi:[0,1]
	v_pk_add_f32 v[120:121], v[26:27], v[14:15]
	v_pk_mul_f32 v[14:15], v[44:45], s[0:1]
	s_mov_b32 s0, s1
	s_mov_b32 s1, s19
	v_pk_fma_f32 v[24:25], v[2:3], s[0:1], v[14:15] neg_lo:[1,0,0] neg_hi:[1,0,0]
	v_pk_fma_f32 v[22:23], v[2:3], s[0:1], v[14:15]
	v_pk_mul_f32 v[26:27], v[46:47], s[34:35]
	v_mov_b32_e32 v25, v23
	v_pk_add_f32 v[28:29], v[0:1], v[24:25]
	v_pk_fma_f32 v[30:31], v[4:5], s[2:3], v[26:27] neg_lo:[1,0,0] neg_hi:[1,0,0]
	v_pk_fma_f32 v[24:25], v[4:5], s[2:3], v[26:27]
	v_pk_mul_f32 v[112:113], v[8:9], s[16:17]
	v_mov_b32_e32 v31, v25
	v_pk_add_f32 v[32:33], v[28:29], v[30:31]
	v_pk_mul_f32 v[30:31], v[48:49], s[42:43]
	v_pk_add_f32 v[58:59], v[58:59], v[62:63]
	v_pk_fma_f32 v[34:35], v[6:7], s[14:15], v[30:31] neg_lo:[1,0,0] neg_hi:[1,0,0]
	v_pk_fma_f32 v[28:29], v[6:7], s[14:15], v[30:31]
	v_mov_b32_e32 v61, v65
	v_mov_b32_e32 v35, v29
	v_pk_add_f32 v[36:37], v[34:35], v[32:33]
	v_pk_mul_f32 v[34:35], v[50:51], s[26:27]
	v_pk_add_f32 v[58:59], v[60:61], v[58:59]
	v_pk_fma_f32 v[38:39], v[8:9], s[6:7], v[34:35] neg_lo:[1,0,0] neg_hi:[1,0,0]
	v_pk_fma_f32 v[32:33], v[8:9], s[6:7], v[34:35]
	v_pk_add_f32 v[60:61], v[70:71], v[112:113] neg_lo:[0,1] neg_hi:[0,1]
	v_mov_b32_e32 v39, v33
	v_pk_add_f32 v[40:41], v[36:37], v[38:39]
	v_pk_mul_f32 v[38:39], v[52:53], s[38:39]
	v_pk_mul_f32 v[114:115], v[10:11], s[24:25]
	v_pk_fma_f32 v[42:43], v[10:11], s[20:21], v[38:39] neg_lo:[1,0,0] neg_hi:[1,0,0]
	v_pk_fma_f32 v[36:37], v[10:11], s[20:21], v[38:39]
	v_mov_b32_e32 v61, v69
	v_mov_b32_e32 v43, v37
	v_pk_add_f32 v[58:59], v[58:59], v[60:61]
	v_pk_add_f32 v[60:61], v[74:75], v[114:115] neg_lo:[0,1] neg_hi:[0,1]
	v_pk_mul_f32 v[116:117], v[12:13], s[18:19]
	v_pk_add_f32 v[122:123], v[40:41], v[42:43]
	v_pk_mul_f32 v[42:43], v[54:55], s[30:31]
	v_mov_b32_e32 v61, v73
	v_pk_fma_f32 v[124:125], v[12:13], s[12:13], v[42:43] neg_lo:[1,0,0] neg_hi:[1,0,0]
	v_pk_fma_f32 v[40:41], v[12:13], s[12:13], v[42:43]
	v_pk_add_f32 v[58:59], v[58:59], v[60:61]
	v_pk_add_f32 v[60:61], v[78:79], v[116:117] neg_lo:[0,1] neg_hi:[0,1]
	v_pk_mul_f32 v[118:119], v[2:3], s[14:15]
	v_mov_b32_e32 v125, v41
	v_mov_b32_e32 v61, v77
	v_pk_add_f32 v[122:123], v[122:123], v[124:125]
	v_pk_mul_f32 v[124:125], v[4:5], s[12:13]
	s_movk_i32 s33, 0x68
	v_pk_add_f32 v[58:59], v[58:59], v[60:61]
	v_pk_add_f32 v[60:61], v[82:83], v[118:119] neg_lo:[0,1] neg_hi:[0,1]
	v_mad_u32_u24 v126, v104, s33, 0
	v_mov_b32_e32 v61, v81
	v_pk_add_f32 v[62:63], v[86:87], v[124:125] neg_lo:[0,1] neg_hi:[0,1]
	ds_write2_b64 v126, v[120:121], v[122:123] offset1:1
	v_pk_mul_f32 v[120:121], v[6:7], s[44:45]
	v_pk_add_f32 v[60:61], v[0:1], v[60:61]
	v_mov_b32_e32 v63, v85
	v_pk_add_f32 v[60:61], v[60:61], v[62:63]
	v_pk_add_f32 v[62:63], v[90:91], v[120:121] neg_lo:[0,1] neg_hi:[0,1]
	v_pk_mul_f32 v[122:123], v[8:9], s[18:19]
	v_mov_b32_e32 v63, v89
	v_pk_add_f32 v[60:61], v[62:63], v[60:61]
	v_pk_add_f32 v[62:63], v[94:95], v[122:123] neg_lo:[0,1] neg_hi:[0,1]
	v_pk_mul_f32 v[106:107], v[10:11], s[2:3]
	v_mov_b32_e32 v63, v93
	v_pk_mul_f32 v[56:57], v[12:13], s[20:21]
	v_pk_add_f32 v[60:61], v[60:61], v[62:63]
	v_pk_add_f32 v[62:63], v[98:99], v[106:107] neg_lo:[0,1] neg_hi:[0,1]
	v_pk_add_f32 v[56:57], v[102:103], v[56:57] neg_lo:[0,1] neg_hi:[0,1]
	v_mov_b32_e32 v63, v97
	v_pk_add_f32 v[60:61], v[60:61], v[62:63]
	v_mov_b32_e32 v57, v101
	v_pk_add_f32 v[56:57], v[60:61], v[56:57]
	ds_write2_b64 v126, v[58:59], v[56:57] offset0:2 offset1:3
	v_pk_mul_f32 v[56:57], v[44:45], s[26:27]
	v_pk_mul_f32 v[62:63], v[46:47], s[40:41]
	v_pk_fma_f32 v[58:59], v[2:3], s[6:7], v[56:57] neg_lo:[1,0,0] neg_hi:[1,0,0]
	v_pk_fma_f32 v[60:61], v[2:3], s[6:7], v[56:57]
	v_pk_fma_f32 v[64:65], v[4:5], s[16:17], v[62:63] neg_lo:[1,0,0] neg_hi:[1,0,0]
	v_mov_b32_e32 v59, v61
	v_pk_fma_f32 v[66:67], v[4:5], s[16:17], v[62:63]
	v_pk_add_f32 v[58:59], v[0:1], v[58:59]
	v_mov_b32_e32 v65, v67
	v_pk_add_f32 v[58:59], v[58:59], v[64:65]
	v_pk_mul_f32 v[64:65], v[48:49], s[36:37]
	s_mov_b32 s45, 0x3e750f2a
	v_pk_fma_f32 v[68:69], v[6:7], s[18:19], v[64:65] neg_lo:[1,0,0] neg_hi:[1,0,0]
	v_pk_fma_f32 v[70:71], v[6:7], s[18:19], v[64:65]
	s_mov_b32 s44, s13
	v_mov_b32_e32 v69, v71
	v_pk_add_f32 v[58:59], v[68:69], v[58:59]
	v_pk_mul_f32 v[68:69], v[50:51], s[42:43]
	s_mov_b32 s40, s45
	v_pk_fma_f32 v[72:73], v[8:9], s[14:15], v[68:69] neg_lo:[1,0,0] neg_hi:[1,0,0]
	v_pk_fma_f32 v[74:75], v[8:9], s[14:15], v[68:69]
	s_mov_b32 s41, s13
	v_mov_b32_e32 v73, v75
	v_pk_add_f32 v[58:59], v[58:59], v[72:73]
	v_pk_mul_f32 v[72:73], v[52:53], s[44:45]
	s_mov_b32 s47, 0x3f52af12
	v_pk_fma_f32 v[76:77], v[10:11], s[40:41], v[72:73] neg_lo:[1,0,0] neg_hi:[1,0,0]
	v_pk_fma_f32 v[78:79], v[10:11], s[40:41], v[72:73]
	s_mov_b32 s46, s3
	v_mov_b32_e32 v77, v79
	v_pk_add_f32 v[58:59], v[58:59], v[76:77]
	v_pk_mul_f32 v[76:77], v[54:55], s[46:47]
	s_mov_b32 s42, s47
	s_mov_b32 s43, s3
	v_pk_fma_f32 v[80:81], v[12:13], s[42:43], v[76:77] neg_lo:[1,0,0] neg_hi:[1,0,0]
	v_pk_fma_f32 v[82:83], v[12:13], s[42:43], v[76:77]
	v_pk_mul_f32 v[88:89], v[46:47], s[28:29]
	v_mov_b32_e32 v81, v83
	v_pk_add_f32 v[58:59], v[58:59], v[80:81]
	v_pk_mul_f32 v[80:81], v[44:45], s[38:39]
	v_pk_fma_f32 v[90:91], v[4:5], s[24:25], v[88:89] neg_lo:[1,0,0] neg_hi:[1,0,0]
	v_pk_fma_f32 v[84:85], v[2:3], s[20:21], v[80:81] neg_lo:[1,0,0] neg_hi:[1,0,0]
	v_pk_fma_f32 v[86:87], v[2:3], s[20:21], v[80:81]
	v_pk_fma_f32 v[92:93], v[4:5], s[24:25], v[88:89]
	v_mov_b32_e32 v85, v87
	v_pk_add_f32 v[84:85], v[0:1], v[84:85]
	v_mov_b32_e32 v91, v93
	v_pk_add_f32 v[84:85], v[84:85], v[90:91]
	v_pk_mul_f32 v[90:91], v[48:49], s[34:35]
	v_pk_mul_f32 v[44:45], v[44:45], s[30:31]
	v_pk_fma_f32 v[94:95], v[6:7], s[2:3], v[90:91] neg_lo:[1,0,0] neg_hi:[1,0,0]
	v_pk_fma_f32 v[96:97], v[6:7], s[2:3], v[90:91]
	v_pk_mul_f32 v[46:47], v[46:47], s[36:37]
	v_mov_b32_e32 v95, v97
	v_pk_add_f32 v[84:85], v[94:95], v[84:85]
	v_pk_mul_f32 v[94:95], v[50:51], s[44:45]
	v_pk_fma_f32 v[112:113], v[4:5], s[18:19], v[46:47]
	v_pk_fma_f32 v[98:99], v[8:9], s[40:41], v[94:95] neg_lo:[1,0,0] neg_hi:[1,0,0]
	v_pk_fma_f32 v[100:101], v[8:9], s[40:41], v[94:95]
	v_pk_mul_f32 v[48:49], v[48:49], s[38:39]
	v_mov_b32_e32 v99, v101
	v_pk_add_f32 v[84:85], v[84:85], v[98:99]
	v_pk_mul_f32 v[98:99], v[52:53], s[36:37]
	v_pk_fma_f32 v[114:115], v[6:7], s[20:21], v[48:49]
	;; [unrolled: 7-line block ×3, first 2 shown]
	v_pk_fma_f32 v[108:109], v[12:13], s[6:7], v[102:103] neg_lo:[1,0,0] neg_hi:[1,0,0]
	v_pk_fma_f32 v[110:111], v[12:13], s[6:7], v[102:103]
	v_pk_mul_f32 v[52:53], v[52:53], s[26:27]
	v_mov_b32_e32 v109, v111
	v_pk_add_f32 v[84:85], v[84:85], v[108:109]
	ds_write2_b64 v126, v[58:59], v[84:85] offset0:4 offset1:5
	v_pk_fma_f32 v[58:59], v[2:3], s[12:13], v[44:45] neg_lo:[1,0,0] neg_hi:[1,0,0]
	v_pk_fma_f32 v[84:85], v[2:3], s[12:13], v[44:45]
	v_pk_fma_f32 v[108:109], v[4:5], s[18:19], v[46:47] neg_lo:[1,0,0] neg_hi:[1,0,0]
	v_mov_b32_e32 v59, v85
	v_pk_add_f32 v[58:59], v[0:1], v[58:59]
	v_mov_b32_e32 v109, v113
	v_pk_add_f32 v[58:59], v[58:59], v[108:109]
	v_pk_fma_f32 v[108:109], v[6:7], s[20:21], v[48:49] neg_lo:[1,0,0] neg_hi:[1,0,0]
	v_pk_fma_f32 v[46:47], v[4:5], s[18:19], v[46:47] neg_lo:[0,0,1] neg_hi:[0,0,1]
	v_mov_b32_e32 v109, v115
	v_pk_add_f32 v[58:59], v[108:109], v[58:59]
	v_pk_fma_f32 v[108:109], v[8:9], s[42:43], v[50:51] neg_lo:[1,0,0] neg_hi:[1,0,0]
	v_mov_b32_e32 v113, v47
	v_mov_b32_e32 v109, v117
	v_pk_fma_f32 v[46:47], v[6:7], s[20:21], v[48:49] neg_lo:[0,0,1] neg_hi:[0,0,1]
	v_pk_add_f32 v[58:59], v[58:59], v[108:109]
	v_pk_fma_f32 v[108:109], v[10:11], s[6:7], v[52:53] neg_lo:[1,0,0] neg_hi:[1,0,0]
	v_pk_fma_f32 v[118:119], v[10:11], s[6:7], v[52:53]
	v_pk_fma_f32 v[44:45], v[2:3], s[12:13], v[44:45] neg_lo:[0,0,1] neg_hi:[0,0,1]
	v_mov_b32_e32 v115, v47
	v_pk_fma_f32 v[46:47], v[8:9], s[42:43], v[50:51] neg_lo:[0,0,1] neg_hi:[0,0,1]
	v_mov_b32_e32 v109, v119
	v_pk_mul_f32 v[54:55], v[54:55], s[28:29]
	v_mov_b32_e32 v85, v45
	v_mov_b32_e32 v117, v47
	v_pk_fma_f32 v[46:47], v[10:11], s[6:7], v[52:53] neg_lo:[0,0,1] neg_hi:[0,0,1]
	v_pk_add_f32 v[58:59], v[58:59], v[108:109]
	v_pk_fma_f32 v[108:109], v[12:13], s[24:25], v[54:55] neg_lo:[1,0,0] neg_hi:[1,0,0]
	v_pk_fma_f32 v[120:121], v[12:13], s[24:25], v[54:55]
	v_pk_add_f32 v[44:45], v[0:1], v[84:85]
	v_mov_b32_e32 v119, v47
	v_pk_fma_f32 v[46:47], v[12:13], s[24:25], v[54:55] neg_lo:[0,0,1] neg_hi:[0,0,1]
	v_mov_b32_e32 v109, v121
	v_pk_add_f32 v[44:45], v[44:45], v[112:113]
	v_mov_b32_e32 v121, v47
	v_pk_fma_f32 v[46:47], v[4:5], s[24:25], v[88:89] neg_lo:[0,0,1] neg_hi:[0,0,1]
	v_pk_add_f32 v[44:45], v[114:115], v[44:45]
	v_mov_b32_e32 v93, v47
	v_pk_fma_f32 v[46:47], v[6:7], s[2:3], v[90:91] neg_lo:[0,0,1] neg_hi:[0,0,1]
	v_pk_add_f32 v[44:45], v[44:45], v[116:117]
	v_mov_b32_e32 v97, v47
	v_pk_fma_f32 v[46:47], v[8:9], s[40:41], v[94:95] neg_lo:[0,0,1] neg_hi:[0,0,1]
	v_pk_add_f32 v[44:45], v[44:45], v[118:119]
	v_mov_b32_e32 v101, v47
	v_pk_fma_f32 v[46:47], v[10:11], s[18:19], v[98:99] neg_lo:[0,0,1] neg_hi:[0,0,1]
	v_pk_add_f32 v[58:59], v[58:59], v[108:109]
	v_pk_add_f32 v[44:45], v[44:45], v[120:121]
	v_mov_b32_e32 v107, v47
	v_pk_fma_f32 v[46:47], v[12:13], s[6:7], v[102:103] neg_lo:[0,0,1] neg_hi:[0,0,1]
	ds_write2_b64 v126, v[58:59], v[44:45] offset0:6 offset1:7
	v_pk_fma_f32 v[44:45], v[2:3], s[20:21], v[80:81] neg_lo:[0,0,1] neg_hi:[0,0,1]
	v_mov_b32_e32 v111, v47
	v_pk_fma_f32 v[46:47], v[2:3], s[6:7], v[56:57] neg_lo:[0,0,1] neg_hi:[0,0,1]
	v_pk_fma_f32 v[2:3], v[2:3], s[0:1], v[14:15] neg_lo:[0,0,1] neg_hi:[0,0,1]
	v_mov_b32_e32 v87, v45
	v_mov_b32_e32 v61, v47
	v_pk_fma_f32 v[48:49], v[4:5], s[16:17], v[62:63] neg_lo:[0,0,1] neg_hi:[0,0,1]
	v_mov_b32_e32 v23, v3
	v_pk_fma_f32 v[2:3], v[4:5], s[2:3], v[26:27] neg_lo:[0,0,1] neg_hi:[0,0,1]
	v_pk_add_f32 v[44:45], v[0:1], v[86:87]
	v_pk_add_f32 v[46:47], v[0:1], v[60:61]
	v_mov_b32_e32 v67, v49
	v_pk_fma_f32 v[48:49], v[6:7], s[18:19], v[64:65] neg_lo:[0,0,1] neg_hi:[0,0,1]
	v_pk_add_f32 v[0:1], v[0:1], v[22:23]
	v_mov_b32_e32 v25, v3
	v_pk_fma_f32 v[2:3], v[6:7], s[14:15], v[30:31] neg_lo:[0,0,1] neg_hi:[0,0,1]
	v_pk_add_f32 v[44:45], v[44:45], v[92:93]
	v_pk_add_f32 v[46:47], v[46:47], v[66:67]
	v_mov_b32_e32 v71, v49
	v_pk_fma_f32 v[48:49], v[8:9], s[14:15], v[68:69] neg_lo:[0,0,1] neg_hi:[0,0,1]
	v_pk_add_f32 v[0:1], v[0:1], v[24:25]
	v_mov_b32_e32 v29, v3
	v_pk_fma_f32 v[2:3], v[8:9], s[6:7], v[34:35] neg_lo:[0,0,1] neg_hi:[0,0,1]
	v_pk_add_f32 v[44:45], v[96:97], v[44:45]
	v_pk_add_f32 v[46:47], v[70:71], v[46:47]
	v_mov_b32_e32 v75, v49
	v_pk_fma_f32 v[48:49], v[10:11], s[40:41], v[72:73] neg_lo:[0,0,1] neg_hi:[0,0,1]
	v_pk_add_f32 v[0:1], v[28:29], v[0:1]
	v_mov_b32_e32 v33, v3
	v_pk_fma_f32 v[2:3], v[10:11], s[20:21], v[38:39] neg_lo:[0,0,1] neg_hi:[0,0,1]
	v_pk_add_f32 v[44:45], v[44:45], v[100:101]
	v_pk_add_f32 v[46:47], v[46:47], v[74:75]
	v_mov_b32_e32 v79, v49
	v_pk_fma_f32 v[48:49], v[12:13], s[42:43], v[76:77] neg_lo:[0,0,1] neg_hi:[0,0,1]
	v_pk_add_f32 v[0:1], v[0:1], v[32:33]
	v_mov_b32_e32 v37, v3
	v_pk_fma_f32 v[2:3], v[12:13], s[12:13], v[42:43] neg_lo:[0,0,1] neg_hi:[0,0,1]
	v_pk_add_f32 v[44:45], v[44:45], v[106:107]
	v_pk_add_f32 v[46:47], v[46:47], v[78:79]
	v_mov_b32_e32 v83, v49
	v_pk_add_f32 v[0:1], v[0:1], v[36:37]
	v_mov_b32_e32 v41, v3
	v_pk_add_f32 v[44:45], v[44:45], v[110:111]
	v_pk_add_f32 v[46:47], v[46:47], v[82:83]
	v_pk_add_f32 v[0:1], v[0:1], v[40:41]
	ds_write2_b64 v126, v[44:45], v[46:47] offset0:8 offset1:9
	ds_write2_b64 v126, v[20:21], v[18:19] offset0:10 offset1:11
	ds_write_b64 v126, v[0:1] offset:96
.LBB0_15:
	s_or_b64 exec, exec, s[22:23]
	v_lshl_add_u32 v26, v104, 3, 0
	v_add_u32_e32 v31, 0x138, v104
	v_add_u32_e32 v4, 0x1300, v26
	;; [unrolled: 1-line block ×4, first 2 shown]
	v_lshl_add_u32 v27, v31, 3, 0
	v_add_u32_e32 v12, 0x2800, v26
	s_waitcnt lgkmcnt(0)
	s_barrier
	ds_read2_b64 v[0:3], v26 offset1:156
	ds_read2_b64 v[4:7], v4 offset0:16 offset1:250
	ds_read2_b64 v[8:11], v8 offset0:54 offset1:210
	v_lshl_add_u32 v28, v30, 3, 0
	ds_read_b64 v[22:23], v27
	ds_read_b64 v[24:25], v28
	ds_read2_b64 v[12:15], v12 offset0:46 offset1:202
	s_movk_i32 s0, 0x4e
	v_cmp_gt_u32_e64 s[0:1], s0, v104
	s_and_saveexec_b64 s[2:3], s[0:1]
	s_cbranch_execz .LBB0_17
; %bb.16:
	ds_read_b64 v[20:21], v26 offset:6240
	ds_read_b64 v[18:19], v26 offset:13104
.LBB0_17:
	s_or_b64 exec, exec, s[2:3]
	s_movk_i32 s2, 0x4f
	v_add_u32_e32 v29, 0x9c, v104
	v_mul_lo_u16_sdwa v34, v104, s2 dst_sel:DWORD dst_unused:UNUSED_PAD src0_sel:BYTE_0 src1_sel:DWORD
	s_movk_i32 s2, 0x4ec5
	v_mul_u32_u24_sdwa v35, v29, s2 dst_sel:DWORD dst_unused:UNUSED_PAD src0_sel:WORD_0 src1_sel:DWORD
	v_lshrrev_b32_e32 v46, 18, v35
	v_mul_lo_u16_e32 v35, 13, v46
	v_sub_u16_e32 v38, v29, v35
	v_mul_u32_u24_sdwa v35, v31, s2 dst_sel:DWORD dst_unused:UNUSED_PAD src0_sel:WORD_0 src1_sel:DWORD
	v_lshrrev_b32_e32 v47, 18, v35
	v_mul_lo_u16_e32 v35, 13, v47
	v_sub_u16_e32 v39, v31, v35
	v_mul_u32_u24_sdwa v31, v30, s2 dst_sel:DWORD dst_unused:UNUSED_PAD src0_sel:WORD_0 src1_sel:DWORD
	v_lshrrev_b32_e32 v48, 18, v31
	v_add_u32_e32 v32, 0x270, v104
	v_mul_lo_u16_e32 v31, 13, v48
	v_sub_u16_e32 v35, v30, v31
	v_mul_u32_u24_sdwa v30, v32, s2 dst_sel:DWORD dst_unused:UNUSED_PAD src0_sel:WORD_0 src1_sel:DWORD
	v_lshrrev_b32_e32 v49, 18, v30
	v_add_u32_e32 v33, 0x30c, v104
	v_mul_lo_u16_e32 v30, 13, v49
	v_lshrrev_b16_e32 v45, 10, v34
	v_sub_u16_e32 v40, v32, v30
	v_mul_u32_u24_sdwa v30, v33, s2 dst_sel:DWORD dst_unused:UNUSED_PAD src0_sel:WORD_0 src1_sel:DWORD
	v_mul_lo_u16_e32 v34, 13, v45
	v_lshrrev_b32_e32 v30, 18, v30
	v_sub_u16_e32 v34, v104, v34
	v_mul_lo_u16_e32 v31, 13, v30
	v_mov_b32_e32 v32, 3
	v_sub_u16_e32 v31, v33, v31
	v_lshlrev_b32_sdwa v51, v32, v34 dst_sel:DWORD dst_unused:UNUSED_PAD src0_sel:DWORD src1_sel:BYTE_0
	v_lshlrev_b32_e32 v31, 3, v31
	v_lshlrev_b32_e32 v50, 3, v35
	global_load_dwordx2 v[32:33], v51, s[4:5]
	global_load_dwordx2 v[34:35], v50, s[4:5]
	;; [unrolled: 1-line block ×3, first 2 shown]
	v_lshlrev_b32_e32 v54, 3, v40
	v_lshlrev_b32_e32 v52, 3, v38
	;; [unrolled: 1-line block ×3, first 2 shown]
	global_load_dwordx2 v[38:39], v54, s[4:5]
	global_load_dwordx2 v[40:41], v53, s[4:5]
	;; [unrolled: 1-line block ×3, first 2 shown]
	s_mov_b32 s3, 0x5040100
	s_movk_i32 s2, 0xd0
	v_perm_b32 v47, v48, v47, s3
	v_pk_mul_lo_u16 v47, v47, s2 op_sel_hi:[1,0]
	s_waitcnt lgkmcnt(0)
	v_mov_b32_e32 v44, v19
	v_mul_u32_u24_e32 v45, 0xd0, v45
	v_mul_u32_u24_e32 v46, 0xd0, v46
	;; [unrolled: 1-line block ×3, first 2 shown]
	v_and_b32_e32 v49, 0xfff0, v47
	v_lshrrev_b32_e32 v47, 16, v47
	v_add3_u32 v58, 0, v45, v51
	v_add3_u32 v59, 0, v46, v52
	v_add3_u32 v60, 0, v49, v53
	v_add3_u32 v61, 0, v47, v50
	v_add3_u32 v62, 0, v48, v54
	s_barrier
	s_waitcnt vmcnt(5)
	v_pk_mul_f32 v[54:55], v[32:33], v[6:7] op_sel:[0,1]
	s_waitcnt vmcnt(4)
	v_pk_mul_f32 v[46:47], v[34:35], v[12:13] op_sel:[0,1]
	s_waitcnt vmcnt(3)
	v_pk_mul_f32 v[44:45], v[44:45], v[36:37] op_sel_hi:[0,1]
	v_pk_fma_f32 v[56:57], v[34:35], v[12:13], v[46:47] op_sel:[0,0,1] op_sel_hi:[1,1,0] neg_lo:[0,0,1] neg_hi:[0,0,1]
	s_waitcnt vmcnt(2)
	v_pk_mul_f32 v[48:49], v[38:39], v[14:15] op_sel:[0,1]
	s_waitcnt vmcnt(1)
	v_pk_mul_f32 v[50:51], v[40:41], v[10:11] op_sel:[0,1]
	;; [unrolled: 2-line block ×3, first 2 shown]
	v_pk_fma_f32 v[12:13], v[34:35], v[12:13], v[46:47] op_sel:[0,0,1] op_sel_hi:[1,0,0]
	v_pk_fma_f32 v[34:35], v[18:19], v[36:37], v[44:45] op_sel:[0,0,1] op_sel_hi:[1,1,0] neg_lo:[0,0,1] neg_hi:[0,0,1]
	v_pk_fma_f32 v[18:19], v[18:19], v[36:37], v[44:45] op_sel:[0,0,1] op_sel_hi:[0,1,0]
	v_pk_fma_f32 v[36:37], v[38:39], v[14:15], v[48:49] op_sel:[0,0,1] op_sel_hi:[1,1,0] neg_lo:[0,0,1] neg_hi:[0,0,1]
	;; [unrolled: 2-line block ×5, first 2 shown]
	v_pk_fma_f32 v[6:7], v[32:33], v[6:7], v[54:55] op_sel:[0,0,1] op_sel_hi:[1,0,0]
	v_mov_b32_e32 v35, v19
	v_mov_b32_e32 v39, v11
	;; [unrolled: 1-line block ×5, first 2 shown]
	v_pk_add_f32 v[12:13], v[20:21], v[34:35] neg_lo:[0,1] neg_hi:[0,1]
	v_pk_add_f32 v[18:19], v[22:23], v[38:39] neg_lo:[0,1] neg_hi:[0,1]
	v_mov_b32_e32 v41, v9
	v_pk_add_f32 v[8:9], v[24:25], v[56:57] neg_lo:[0,1] neg_hi:[0,1]
	v_pk_add_f32 v[10:11], v[4:5], v[36:37] neg_lo:[0,1] neg_hi:[0,1]
	v_pk_fma_f32 v[14:15], v[20:21], 2.0, v[12:13] op_sel_hi:[1,0,1] neg_lo:[0,0,1] neg_hi:[0,0,1]
	v_pk_fma_f32 v[20:21], v[22:23], 2.0, v[18:19] op_sel_hi:[1,0,1] neg_lo:[0,0,1] neg_hi:[0,0,1]
	v_pk_add_f32 v[22:23], v[0:1], v[42:43] neg_lo:[0,1] neg_hi:[0,1]
	v_pk_add_f32 v[32:33], v[2:3], v[40:41] neg_lo:[0,1] neg_hi:[0,1]
	v_pk_fma_f32 v[6:7], v[24:25], 2.0, v[8:9] op_sel_hi:[1,0,1] neg_lo:[0,0,1] neg_hi:[0,0,1]
	v_pk_fma_f32 v[4:5], v[4:5], 2.0, v[10:11] op_sel_hi:[1,0,1] neg_lo:[0,0,1] neg_hi:[0,0,1]
	v_pk_fma_f32 v[0:1], v[0:1], 2.0, v[22:23] op_sel_hi:[1,0,1] neg_lo:[0,0,1] neg_hi:[0,0,1]
	v_pk_fma_f32 v[2:3], v[2:3], 2.0, v[32:33] op_sel_hi:[1,0,1] neg_lo:[0,0,1] neg_hi:[0,0,1]
	ds_write2_b64 v58, v[0:1], v[22:23] offset1:13
	ds_write2_b64 v59, v[2:3], v[32:33] offset1:13
	;; [unrolled: 1-line block ×5, first 2 shown]
	s_and_saveexec_b64 s[2:3], s[0:1]
	s_cbranch_execz .LBB0_19
; %bb.18:
	v_mul_lo_u16_e32 v0, 26, v30
	v_lshlrev_b32_e32 v0, 3, v0
	v_add3_u32 v0, 0, v31, v0
	ds_write2_b64 v0, v[14:15], v[12:13] offset1:13
.LBB0_19:
	s_or_b64 exec, exec, s[2:3]
	s_waitcnt lgkmcnt(0)
	s_barrier
	ds_read_b64 v[0:1], v26
	ds_read_b64 v[24:25], v26 offset:2288
	ds_read_b64 v[22:23], v26 offset:4576
	;; [unrolled: 1-line block ×5, first 2 shown]
	s_movk_i32 s0, 0x82
	v_cmp_gt_u32_e64 s[0:1], s0, v104
	s_and_saveexec_b64 s[2:3], s[0:1]
	s_cbranch_execz .LBB0_21
; %bb.20:
	ds_read_b64 v[6:7], v26 offset:1248
	ds_read_b64 v[8:9], v26 offset:3536
	;; [unrolled: 1-line block ×6, first 2 shown]
.LBB0_21:
	s_or_b64 exec, exec, s[2:3]
	s_movk_i32 s2, 0x4f
	v_mul_lo_u16_sdwa v30, v104, s2 dst_sel:DWORD dst_unused:UNUSED_PAD src0_sel:BYTE_0 src1_sel:DWORD
	v_lshrrev_b16_e32 v40, 11, v30
	v_mul_lo_u16_e32 v30, 26, v40
	v_sub_u16_e32 v41, v104, v30
	v_mov_b32_e32 v30, 5
	v_mul_u32_u24_sdwa v30, v41, v30 dst_sel:DWORD dst_unused:UNUSED_PAD src0_sel:BYTE_0 src1_sel:DWORD
	v_lshlrev_b32_e32 v42, 3, v30
	global_load_dwordx4 v[30:33], v42, s[4:5] offset:104
	global_load_dwordx4 v[34:37], v42, s[4:5] offset:120
	global_load_dwordx2 v[38:39], v42, s[4:5] offset:136
	v_mov_b32_e32 v42, 3
	v_mul_u32_u24_e32 v40, 0x4e0, v40
	v_lshlrev_b32_sdwa v41, v42, v41 dst_sel:DWORD dst_unused:UNUSED_PAD src0_sel:DWORD src1_sel:BYTE_0
	v_add3_u32 v52, 0, v40, v41
	s_mov_b32 s2, 0x3f5db3d7
	s_mov_b32 s3, 0xbf5db3d7
	s_waitcnt lgkmcnt(0)
	s_barrier
	s_waitcnt vmcnt(2)
	v_pk_mul_f32 v[40:41], v[30:31], v[24:25] op_sel:[0,1]
	v_pk_mul_f32 v[42:43], v[32:33], v[22:23] op_sel:[0,1]
	s_waitcnt vmcnt(1)
	v_pk_mul_f32 v[44:45], v[34:35], v[20:21] op_sel:[0,1]
	v_pk_mul_f32 v[46:47], v[36:37], v[18:19] op_sel:[0,1]
	s_waitcnt vmcnt(0)
	v_pk_mul_f32 v[48:49], v[38:39], v[2:3] op_sel:[0,1]
	v_pk_fma_f32 v[50:51], v[30:31], v[24:25], v[40:41] op_sel:[0,0,1] op_sel_hi:[1,1,0] neg_lo:[0,0,1] neg_hi:[0,0,1]
	v_pk_fma_f32 v[24:25], v[30:31], v[24:25], v[40:41] op_sel:[0,0,1] op_sel_hi:[1,0,0]
	v_pk_fma_f32 v[30:31], v[32:33], v[22:23], v[42:43] op_sel:[0,0,1] op_sel_hi:[1,1,0] neg_lo:[0,0,1] neg_hi:[0,0,1]
	v_pk_fma_f32 v[22:23], v[32:33], v[22:23], v[42:43] op_sel:[0,0,1] op_sel_hi:[1,0,0]
	;; [unrolled: 2-line block ×5, first 2 shown]
	v_mov_b32_e32 v31, v23
	v_mov_b32_e32 v33, v21
	v_mov_b32_e32 v35, v19
	v_mov_b32_e32 v37, v3
	v_mov_b32_e32 v51, v25
	v_pk_add_f32 v[20:21], v[30:31], v[34:35]
	v_pk_add_f32 v[22:23], v[30:31], v[34:35] neg_lo:[0,1] neg_hi:[0,1]
	v_pk_add_f32 v[24:25], v[32:33], v[36:37]
	v_pk_add_f32 v[2:3], v[0:1], v[30:31]
	;; [unrolled: 1-line block ×3, first 2 shown]
	v_pk_add_f32 v[30:31], v[32:33], v[36:37] neg_lo:[0,1] neg_hi:[0,1]
	v_pk_fma_f32 v[0:1], v[20:21], 0.5, v[0:1] op_sel_hi:[1,0,1] neg_lo:[1,0,0] neg_hi:[1,0,0]
	v_pk_mul_f32 v[20:21], v[22:23], s[2:3] op_sel_hi:[1,0]
	v_pk_fma_f32 v[22:23], v[24:25], 0.5, v[50:51] op_sel_hi:[1,0,1] neg_lo:[1,0,0] neg_hi:[1,0,0]
	v_pk_add_f32 v[2:3], v[2:3], v[34:35]
	v_pk_add_f32 v[18:19], v[18:19], v[36:37]
	v_pk_add_f32 v[32:33], v[20:21], v[0:1] op_sel:[1,0] op_sel_hi:[0,1]
	v_pk_add_f32 v[0:1], v[0:1], v[20:21] op_sel:[0,1] op_sel_hi:[1,0] neg_lo:[0,1] neg_hi:[0,1]
	v_pk_fma_f32 v[20:21], v[30:31], s[2:3], v[22:23] op_sel:[0,0,1] op_sel_hi:[1,0,0]
	v_pk_fma_f32 v[22:23], v[30:31], s[2:3], v[22:23] op_sel:[0,0,1] op_sel_hi:[1,0,0] neg_lo:[1,0,0] neg_hi:[1,0,0]
	v_pk_add_f32 v[24:25], v[2:3], v[18:19]
	v_pk_add_f32 v[2:3], v[2:3], v[18:19] neg_lo:[0,1] neg_hi:[0,1]
	v_mov_b32_e32 v18, v0
	v_mov_b32_e32 v30, v20
	;; [unrolled: 1-line block ×3, first 2 shown]
	v_mul_f32_e32 v0, 0x3f5db3d7, v22
	v_mov_b32_e32 v19, v33
	v_mul_f32_e32 v33, 0xbf5db3d7, v21
	v_fmac_f32_e32 v0, 0.5, v21
	v_pk_mul_f32 v[20:21], v[30:31], 0.5 op_sel_hi:[1,0]
	v_fmac_f32_e32 v33, 0.5, v22
	v_pk_fma_f32 v[20:21], v[30:31], s[2:3], v[20:21] op_sel:[0,0,1] op_sel_hi:[1,1,0] neg_lo:[0,0,1] neg_hi:[0,0,1]
	v_add_f32_e32 v22, v32, v0
	v_add_f32_e32 v23, v1, v33
	v_pk_add_f32 v[30:31], v[18:19], v[20:21]
	v_sub_f32_e32 v0, v32, v0
	v_sub_f32_e32 v1, v1, v33
	ds_write2_b64 v52, v[24:25], v[22:23] offset1:26
	v_pk_add_f32 v[18:19], v[18:19], v[20:21] neg_lo:[0,1] neg_hi:[0,1]
	ds_write2_b64 v52, v[30:31], v[2:3] offset0:52 offset1:78
	ds_write2_b64 v52, v[0:1], v[18:19] offset0:104 offset1:130
	s_and_saveexec_b64 s[6:7], s[0:1]
	s_cbranch_execz .LBB0_23
; %bb.22:
	s_movk_i32 s0, 0x4ec5
	v_mul_u32_u24_sdwa v0, v29, s0 dst_sel:DWORD dst_unused:UNUSED_PAD src0_sel:WORD_0 src1_sel:DWORD
	v_lshrrev_b32_e32 v25, 19, v0
	v_mul_lo_u16_e32 v0, 26, v25
	v_sub_u16_e32 v29, v29, v0
	v_mul_u32_u24_e32 v0, 5, v29
	v_lshlrev_b32_e32 v24, 3, v0
	global_load_dwordx4 v[0:3], v24, s[4:5] offset:104
	global_load_dwordx4 v[18:21], v24, s[4:5] offset:120
	global_load_dwordx2 v[22:23], v24, s[4:5] offset:136
	v_mov_b32_e32 v24, v5
	v_mov_b32_e32 v30, v15
	;; [unrolled: 1-line block ×4, first 2 shown]
	v_mul_lo_u16_e32 v5, 0x9c, v25
	v_mov_b32_e32 v32, v9
	v_lshlrev_b32_e32 v5, 3, v5
	v_lshlrev_b32_e32 v9, 3, v29
	v_add3_u32 v29, 0, v9, v5
	s_waitcnt vmcnt(2)
	v_pk_mul_f32 v[24:25], v[24:25], v[2:3] op_sel_hi:[0,1]
	s_waitcnt vmcnt(1)
	v_pk_mul_f32 v[30:31], v[30:31], v[20:21] op_sel_hi:[0,1]
	v_pk_mul_f32 v[34:35], v[34:35], v[18:19] op_sel_hi:[0,1]
	s_waitcnt vmcnt(0)
	v_pk_mul_f32 v[36:37], v[36:37], v[22:23] op_sel_hi:[0,1]
	v_pk_mul_f32 v[32:33], v[32:33], v[0:1] op_sel_hi:[0,1]
	v_pk_fma_f32 v[38:39], v[4:5], v[2:3], v[24:25] op_sel:[0,0,1] op_sel_hi:[1,1,0] neg_lo:[0,0,1] neg_hi:[0,0,1]
	v_pk_fma_f32 v[2:3], v[4:5], v[2:3], v[24:25] op_sel:[0,0,1] op_sel_hi:[0,1,0]
	v_pk_fma_f32 v[4:5], v[14:15], v[20:21], v[30:31] op_sel:[0,0,1] op_sel_hi:[1,1,0] neg_lo:[0,0,1] neg_hi:[0,0,1]
	v_pk_fma_f32 v[14:15], v[14:15], v[20:21], v[30:31] op_sel:[0,0,1] op_sel_hi:[0,1,0]
	v_pk_fma_f32 v[20:21], v[10:11], v[18:19], v[34:35] op_sel:[0,0,1] op_sel_hi:[1,1,0] neg_lo:[0,0,1] neg_hi:[0,0,1]
	v_pk_fma_f32 v[10:11], v[10:11], v[18:19], v[34:35] op_sel:[0,0,1] op_sel_hi:[0,1,0]
	v_pk_fma_f32 v[18:19], v[12:13], v[22:23], v[36:37] op_sel:[0,0,1] op_sel_hi:[1,1,0] neg_lo:[0,0,1] neg_hi:[0,0,1]
	v_pk_fma_f32 v[12:13], v[12:13], v[22:23], v[36:37] op_sel:[0,0,1] op_sel_hi:[0,1,0]
	v_pk_fma_f32 v[22:23], v[8:9], v[0:1], v[32:33] op_sel:[0,0,1] op_sel_hi:[1,1,0] neg_lo:[0,0,1] neg_hi:[0,0,1]
	v_pk_fma_f32 v[0:1], v[8:9], v[0:1], v[32:33] op_sel:[0,0,1] op_sel_hi:[0,1,0]
	v_mov_b32_e32 v39, v3
	v_mov_b32_e32 v21, v11
	;; [unrolled: 1-line block ×5, first 2 shown]
	v_pk_add_f32 v[0:1], v[6:7], v[38:39]
	v_pk_add_f32 v[10:11], v[20:21], v[18:19]
	;; [unrolled: 1-line block ×3, first 2 shown]
	v_pk_add_f32 v[8:9], v[20:21], v[18:19] neg_lo:[0,1] neg_hi:[0,1]
	v_pk_add_f32 v[12:13], v[38:39], v[4:5]
	v_pk_add_f32 v[14:15], v[38:39], v[4:5] neg_lo:[0,1] neg_hi:[0,1]
	v_pk_add_f32 v[0:1], v[0:1], v[4:5]
	v_pk_fma_f32 v[4:5], v[10:11], 0.5, v[22:23] op_sel_hi:[1,0,1] neg_lo:[1,0,0] neg_hi:[1,0,0]
	v_pk_add_f32 v[2:3], v[2:3], v[18:19]
	v_pk_fma_f32 v[6:7], v[12:13], 0.5, v[6:7] op_sel_hi:[1,0,1] neg_lo:[1,0,0] neg_hi:[1,0,0]
	v_pk_mul_f32 v[10:11], v[14:15], s[2:3] op_sel_hi:[1,0]
	v_pk_fma_f32 v[14:15], v[8:9], s[2:3], v[4:5] op_sel:[0,0,1] op_sel_hi:[1,0,0]
	v_pk_fma_f32 v[4:5], v[8:9], s[2:3], v[4:5] op_sel:[0,0,1] op_sel_hi:[1,0,0] neg_lo:[1,0,0] neg_hi:[1,0,0]
	v_pk_add_f32 v[12:13], v[0:1], v[2:3]
	v_pk_add_f32 v[8:9], v[6:7], v[10:11] op_sel:[0,1] op_sel_hi:[1,0] neg_lo:[0,1] neg_hi:[0,1]
	v_pk_add_f32 v[6:7], v[6:7], v[10:11] op_sel:[0,1] op_sel_hi:[1,0]
	v_pk_add_f32 v[0:1], v[0:1], v[2:3] neg_lo:[0,1] neg_hi:[0,1]
	v_mov_b32_e32 v2, v14
	v_mov_b32_e32 v3, v5
	;; [unrolled: 1-line block ×4, first 2 shown]
	v_mul_f32_e32 v7, 0xbf5db3d7, v15
	v_mul_f32_e32 v8, 0x3f5db3d7, v4
	v_pk_mul_f32 v[18:19], v[2:3], 0.5 op_sel_hi:[1,0]
	v_fmac_f32_e32 v7, 0.5, v4
	v_fmac_f32_e32 v8, 0.5, v15
	v_pk_fma_f32 v[2:3], v[2:3], s[2:3], v[18:19] op_sel:[0,0,1] op_sel_hi:[1,1,0] neg_lo:[0,0,1] neg_hi:[0,0,1]
	v_sub_f32_e32 v5, v9, v7
	v_sub_f32_e32 v4, v6, v8
	v_add_f32_e32 v7, v9, v7
	v_add_f32_e32 v6, v6, v8
	v_pk_add_f32 v[8:9], v[10:11], v[2:3]
	ds_write2_b64 v29, v[12:13], v[6:7] offset1:26
	v_pk_add_f32 v[2:3], v[10:11], v[2:3] neg_lo:[0,1] neg_hi:[0,1]
	ds_write2_b64 v29, v[8:9], v[0:1] offset0:52 offset1:78
	ds_write2_b64 v29, v[4:5], v[2:3] offset0:104 offset1:130
.LBB0_23:
	s_or_b64 exec, exec, s[6:7]
	s_waitcnt lgkmcnt(0)
	s_barrier
	s_and_saveexec_b64 s[0:1], vcc
	s_cbranch_execz .LBB0_25
; %bb.24:
	v_mul_u32_u24_e32 v0, 10, v104
	v_add_u32_e32 v4, 0x2400, v26
	v_lshlrev_b32_e32 v8, 3, v0
	ds_read2_b64 v[0:3], v26 offset1:156
	ds_read2_b64 v[22:25], v4 offset0:96 offset1:252
	ds_read_b64 v[56:57], v26 offset:12480
	ds_read_b64 v[58:59], v27
	ds_read_b64 v[60:61], v28
	v_add_u32_e32 v4, 0x1c00, v26
	ds_read2_b64 v[28:31], v4 offset0:40 offset1:196
	v_add_u32_e32 v4, 0x1200, v26
	ds_read2_b64 v[32:35], v4 offset0:48 offset1:204
	global_load_dwordx4 v[36:39], v8, s[4:5] offset:1160
	global_load_dwordx4 v[40:43], v8, s[4:5] offset:1144
	;; [unrolled: 1-line block ×5, first 2 shown]
	v_mad_u64_u32 v[4:5], s[0:1], s8, v105, 0
	v_mov_b32_e32 v6, v5
	v_mad_u64_u32 v[6:7], s[0:1], s9, v105, v[6:7]
	v_mov_b32_e32 v5, v6
	v_lshl_add_u64 v[14:15], v[16:17], 3, s[10:11]
	v_add_u32_e32 v7, 0x9c, v105
	v_lshl_add_u64 v[20:21], v[4:5], 3, v[14:15]
	v_mad_u64_u32 v[4:5], s[0:1], s8, v7, 0
	v_mov_b32_e32 v6, v5
	v_mad_u64_u32 v[6:7], s[0:1], s9, v7, v[6:7]
	v_mov_b32_e32 v5, v6
	v_add_u32_e32 v7, 0x138, v105
	v_lshl_add_u64 v[26:27], v[4:5], 3, v[14:15]
	v_mad_u64_u32 v[4:5], s[0:1], s8, v7, 0
	v_mov_b32_e32 v6, v5
	v_mad_u64_u32 v[6:7], s[0:1], s9, v7, v[6:7]
	v_mov_b32_e32 v5, v6
	;; [unrolled: 6-line block ×4, first 2 shown]
	v_add_u32_e32 v7, 0x30c, v105
	v_lshl_add_u64 v[16:17], v[4:5], 3, v[14:15]
	v_mad_u64_u32 v[4:5], s[0:1], s8, v7, 0
	v_mov_b32_e32 v6, v5
	v_mad_u64_u32 v[6:7], s[0:1], s9, v7, v[6:7]
	v_add_u32_e32 v9, 0x3a8, v105
	v_mov_b32_e32 v5, v6
	v_mad_u64_u32 v[6:7], s[0:1], s8, v9, 0
	v_mov_b32_e32 v8, v7
	v_mad_u64_u32 v[8:9], s[0:1], s9, v9, v[8:9]
	v_add_u32_e32 v11, 0x444, v105
	v_mov_b32_e32 v7, v8
	;; [unrolled: 5-line block ×5, first 2 shown]
	v_mad_u64_u32 v[64:65], s[0:1], s8, v67, 0
	v_mov_b32_e32 v66, v65
	v_mad_u64_u32 v[66:67], s[0:1], s9, v67, v[66:67]
	v_mov_b32_e32 v65, v66
	v_lshl_add_u64 v[4:5], v[4:5], 3, v[14:15]
	v_lshl_add_u64 v[6:7], v[6:7], 3, v[14:15]
	;; [unrolled: 1-line block ×6, first 2 shown]
	s_waitcnt vmcnt(3) lgkmcnt(6)
	v_pk_mul_f32 v[64:65], v[40:41], v[2:3] op_sel:[0,1]
	s_mov_b32 s14, 0xbf0a6770
	v_pk_fma_f32 v[66:67], v[40:41], v[2:3], v[64:65] op_sel:[0,0,1] op_sel_hi:[1,1,0] neg_lo:[0,0,1] neg_hi:[0,0,1]
	v_pk_fma_f32 v[2:3], v[40:41], v[2:3], v[64:65] op_sel:[0,0,1] op_sel_hi:[1,0,0]
	s_mov_b32 s0, 0x3f575c64
	v_mov_b32_e32 v67, v3
	s_waitcnt vmcnt(2) lgkmcnt(4)
	v_pk_mul_f32 v[2:3], v[46:47], v[56:57] op_sel:[0,1]
	s_mov_b32 s18, 0xbf68dda4
	v_pk_fma_f32 v[40:41], v[46:47], v[56:57], v[2:3] op_sel:[0,0,1] op_sel_hi:[1,1,0] neg_lo:[0,0,1] neg_hi:[0,0,1]
	v_pk_fma_f32 v[2:3], v[46:47], v[56:57], v[2:3] op_sel:[0,0,1] op_sel_hi:[1,0,0]
	s_mov_b32 s2, 0x3ed4b147
	v_mov_b32_e32 v41, v3
	s_waitcnt lgkmcnt(3)
	v_pk_mul_f32 v[2:3], v[42:43], v[58:59] op_sel:[0,1]
	s_mov_b32 s6, 0xbf7d64f0
	v_pk_fma_f32 v[46:47], v[42:43], v[58:59], v[2:3] op_sel:[0,0,1] op_sel_hi:[1,1,0] neg_lo:[0,0,1] neg_hi:[0,0,1]
	v_pk_fma_f32 v[2:3], v[42:43], v[58:59], v[2:3] op_sel:[0,0,1] op_sel_hi:[1,0,0]
	s_mov_b32 s4, 0xbe11bafb
	v_mov_b32_e32 v47, v3
	v_pk_mul_f32 v[2:3], v[44:45], v[24:25] op_sel:[0,1]
	s_mov_b32 s10, 0xbf4178ce
	v_pk_fma_f32 v[42:43], v[44:45], v[24:25], v[2:3] op_sel:[0,0,1] op_sel_hi:[1,1,0] neg_lo:[0,0,1] neg_hi:[0,0,1]
	v_pk_fma_f32 v[2:3], v[44:45], v[24:25], v[2:3] op_sel:[0,0,1] op_sel_hi:[1,0,0]
	s_mov_b32 s8, 0xbf27a4f4
	v_mov_b32_e32 v43, v3
	s_waitcnt lgkmcnt(2)
	v_pk_mul_f32 v[2:3], v[36:37], v[60:61] op_sel:[0,1]
	s_mov_b32 s16, 0xbe903f40
	v_pk_fma_f32 v[24:25], v[36:37], v[60:61], v[2:3] op_sel:[0,0,1] op_sel_hi:[1,1,0] neg_lo:[0,0,1] neg_hi:[0,0,1]
	v_pk_fma_f32 v[2:3], v[36:37], v[60:61], v[2:3] op_sel:[0,0,1] op_sel_hi:[1,0,0]
	s_mov_b32 s12, 0xbf75a155
	v_mov_b32_e32 v25, v3
	s_waitcnt vmcnt(1)
	v_pk_mul_f32 v[2:3], v[50:51], v[22:23] op_sel:[0,1]
	s_mov_b32 s20, 0x3e903f40
	v_pk_fma_f32 v[36:37], v[50:51], v[22:23], v[2:3] op_sel:[0,0,1] op_sel_hi:[1,1,0] neg_lo:[0,0,1] neg_hi:[0,0,1]
	v_pk_fma_f32 v[2:3], v[50:51], v[22:23], v[2:3] op_sel:[0,0,1] op_sel_hi:[1,0,0]
	v_pk_add_f32 v[50:51], v[42:43], v[46:47]
	v_mov_b32_e32 v37, v3
	s_waitcnt lgkmcnt(0)
	v_pk_mul_f32 v[2:3], v[38:39], v[32:33] op_sel:[0,1]
	v_pk_add_f32 v[60:61], v[24:25], v[36:37] neg_lo:[0,1] neg_hi:[0,1]
	v_pk_fma_f32 v[22:23], v[38:39], v[32:33], v[2:3] op_sel:[0,0,1] op_sel_hi:[1,1,0] neg_lo:[0,0,1] neg_hi:[0,0,1]
	v_pk_fma_f32 v[2:3], v[38:39], v[32:33], v[2:3] op_sel:[0,0,1] op_sel_hi:[1,0,0]
	v_pk_mul_f32 v[64:65], v[60:61], s[6:7] op_sel:[1,0] op_sel_hi:[0,0]
	v_mov_b32_e32 v23, v3
	v_pk_mul_f32 v[2:3], v[48:49], v[30:31] op_sel:[0,1]
	s_mov_b32 s22, 0x3f7d64f0
	v_pk_fma_f32 v[32:33], v[48:49], v[30:31], v[2:3] op_sel:[0,0,1] op_sel_hi:[1,1,0] neg_lo:[0,0,1] neg_hi:[0,0,1]
	v_pk_fma_f32 v[2:3], v[48:49], v[30:31], v[2:3] op_sel:[0,0,1] op_sel_hi:[1,0,0]
	s_nop 0
	v_mov_b32_e32 v33, v3
	s_waitcnt vmcnt(0)
	v_pk_mul_f32 v[2:3], v[52:53], v[34:35] op_sel:[0,1]
	v_pk_add_f32 v[72:73], v[22:23], v[32:33] neg_lo:[0,1] neg_hi:[0,1]
	v_pk_fma_f32 v[30:31], v[52:53], v[34:35], v[2:3] op_sel:[0,0,1] op_sel_hi:[1,1,0] neg_lo:[0,0,1] neg_hi:[0,0,1]
	v_pk_fma_f32 v[2:3], v[52:53], v[34:35], v[2:3] op_sel:[0,0,1] op_sel_hi:[1,0,0]
	v_pk_add_f32 v[52:53], v[46:47], v[42:43] neg_lo:[0,1] neg_hi:[0,1]
	v_mov_b32_e32 v31, v3
	v_pk_mul_f32 v[2:3], v[54:55], v[28:29] op_sel:[0,1]
	v_pk_mul_f32 v[74:75], v[72:73], s[10:11] op_sel:[1,0] op_sel_hi:[0,0]
	v_pk_fma_f32 v[34:35], v[54:55], v[28:29], v[2:3] op_sel:[0,0,1] op_sel_hi:[1,1,0] neg_lo:[0,0,1] neg_hi:[0,0,1]
	v_pk_fma_f32 v[2:3], v[54:55], v[28:29], v[2:3] op_sel:[0,0,1] op_sel_hi:[1,0,0]
	v_pk_add_f32 v[28:29], v[66:67], v[40:41] neg_lo:[0,1] neg_hi:[0,1]
	v_mov_b32_e32 v35, v3
	v_pk_add_f32 v[2:3], v[40:41], v[66:67]
	v_pk_mul_f32 v[38:39], v[28:29], s[14:15] op_sel:[1,0] op_sel_hi:[0,0]
	v_pk_fma_f32 v[44:45], v[2:3], s[0:1], v[38:39] op_sel_hi:[1,0,1]
	v_pk_fma_f32 v[38:39], v[2:3], s[0:1], v[38:39] op_sel_hi:[1,0,1] neg_lo:[0,0,1] neg_hi:[0,0,1]
	v_pk_mul_f32 v[54:55], v[52:53], s[18:19] op_sel:[1,0] op_sel_hi:[0,0]
	v_mov_b32_e32 v48, v44
	v_mov_b32_e32 v49, v39
	v_pk_fma_f32 v[56:57], v[50:51], s[2:3], v[54:55] op_sel_hi:[1,0,1]
	v_pk_fma_f32 v[54:55], v[50:51], s[2:3], v[54:55] op_sel_hi:[1,0,1] neg_lo:[0,0,1] neg_hi:[0,0,1]
	v_pk_add_f32 v[48:49], v[48:49], v[0:1]
	v_mov_b32_e32 v58, v56
	v_mov_b32_e32 v59, v55
	v_pk_add_f32 v[48:49], v[48:49], v[58:59]
	v_pk_add_f32 v[58:59], v[36:37], v[24:25]
	;; [unrolled: 1-line block ×3, first 2 shown]
	v_pk_fma_f32 v[68:69], v[58:59], s[4:5], v[64:65] op_sel_hi:[1,0,1]
	v_pk_fma_f32 v[64:65], v[58:59], s[4:5], v[64:65] op_sel_hi:[1,0,1] neg_lo:[0,0,1] neg_hi:[0,0,1]
	v_pk_add_f32 v[46:47], v[66:67], v[46:47]
	v_mov_b32_e32 v70, v68
	v_mov_b32_e32 v71, v65
	v_pk_add_f32 v[24:25], v[46:47], v[24:25]
	v_pk_add_f32 v[48:49], v[48:49], v[70:71]
	;; [unrolled: 1-line block ×4, first 2 shown]
	v_pk_fma_f32 v[76:77], v[70:71], s[8:9], v[74:75] op_sel_hi:[1,0,1]
	v_pk_add_f32 v[22:23], v[22:23], v[30:31]
	v_pk_fma_f32 v[74:75], v[70:71], s[8:9], v[74:75] op_sel_hi:[1,0,1] neg_lo:[0,0,1] neg_hi:[0,0,1]
	v_pk_add_f32 v[22:23], v[34:35], v[22:23]
	v_mov_b32_e32 v39, v45
	v_pk_add_f32 v[22:23], v[32:33], v[22:23]
	v_mov_b32_e32 v78, v76
	;; [unrolled: 2-line block ×3, first 2 shown]
	v_pk_add_f32 v[22:23], v[42:43], v[22:23]
	v_pk_add_f32 v[80:81], v[30:31], v[34:35] neg_lo:[0,1] neg_hi:[0,1]
	v_pk_add_f32 v[22:23], v[40:41], v[22:23]
	global_store_dwordx2 v[20:21], v[22:23], off
	v_pk_add_f32 v[20:21], v[38:39], v[0:1]
	v_mov_b32_e32 v55, v57
	v_pk_add_f32 v[48:49], v[48:49], v[78:79]
	v_pk_add_f32 v[78:79], v[34:35], v[30:31]
	v_pk_mul_f32 v[82:83], v[80:81], s[16:17] op_sel:[1,0] op_sel_hi:[0,0]
	v_pk_add_f32 v[20:21], v[20:21], v[54:55]
	v_mov_b32_e32 v65, v69
	v_pk_fma_f32 v[84:85], v[78:79], s[12:13], v[82:83] op_sel_hi:[1,0,1]
	v_pk_fma_f32 v[82:83], v[78:79], s[12:13], v[82:83] op_sel_hi:[1,0,1] neg_lo:[0,0,1] neg_hi:[0,0,1]
	v_pk_add_f32 v[20:21], v[20:21], v[64:65]
	v_mov_b32_e32 v75, v77
	v_mov_b32_e32 v87, v83
	v_pk_add_f32 v[20:21], v[20:21], v[74:75]
	v_mov_b32_e32 v83, v85
	v_pk_add_f32 v[20:21], v[20:21], v[82:83]
	global_store_dwordx2 v[26:27], v[20:21], off
	v_pk_mul_f32 v[20:21], v[28:29], s[18:19] op_sel:[1,0] op_sel_hi:[0,0]
	v_pk_mul_f32 v[22:23], v[52:53], s[10:11] op_sel:[1,0] op_sel_hi:[0,0]
	v_pk_fma_f32 v[32:33], v[2:3], s[2:3], v[20:21] op_sel_hi:[1,0,1]
	v_pk_fma_f32 v[20:21], v[2:3], s[2:3], v[20:21] op_sel_hi:[1,0,1] neg_lo:[0,0,1] neg_hi:[0,0,1]
	v_mov_b32_e32 v34, v32
	v_mov_b32_e32 v35, v21
	v_pk_fma_f32 v[36:37], v[50:51], s[8:9], v[22:23] op_sel_hi:[1,0,1]
	v_pk_fma_f32 v[22:23], v[50:51], s[8:9], v[22:23] op_sel_hi:[1,0,1] neg_lo:[0,0,1] neg_hi:[0,0,1]
	v_pk_mul_f32 v[24:25], v[60:61], s[20:21] op_sel:[1,0] op_sel_hi:[0,0]
	v_pk_add_f32 v[34:35], v[34:35], v[0:1]
	v_mov_b32_e32 v38, v36
	v_mov_b32_e32 v39, v23
	v_pk_add_f32 v[34:35], v[34:35], v[38:39]
	v_pk_fma_f32 v[38:39], v[58:59], s[12:13], v[24:25] op_sel_hi:[1,0,1]
	v_pk_fma_f32 v[24:25], v[58:59], s[12:13], v[24:25] op_sel_hi:[1,0,1] neg_lo:[0,0,1] neg_hi:[0,0,1]
	v_pk_mul_f32 v[26:27], v[72:73], s[22:23] op_sel:[1,0] op_sel_hi:[0,0]
	v_mov_b32_e32 v40, v38
	v_mov_b32_e32 v41, v25
	;; [unrolled: 1-line block ×3, first 2 shown]
	s_mov_b32 s18, 0x3f0a6770
	v_pk_add_f32 v[34:35], v[34:35], v[40:41]
	v_pk_fma_f32 v[40:41], v[70:71], s[4:5], v[26:27] op_sel_hi:[1,0,1]
	v_pk_fma_f32 v[26:27], v[70:71], s[4:5], v[26:27] op_sel_hi:[1,0,1] neg_lo:[0,0,1] neg_hi:[0,0,1]
	v_pk_add_f32 v[20:21], v[20:21], v[0:1]
	v_mov_b32_e32 v23, v37
	v_pk_mul_f32 v[30:31], v[80:81], s[18:19] op_sel:[1,0] op_sel_hi:[0,0]
	v_mov_b32_e32 v42, v40
	v_mov_b32_e32 v43, v27
	v_pk_add_f32 v[20:21], v[20:21], v[22:23]
	v_mov_b32_e32 v25, v39
	v_pk_add_f32 v[34:35], v[34:35], v[42:43]
	v_pk_fma_f32 v[42:43], v[78:79], s[0:1], v[30:31] op_sel_hi:[1,0,1]
	v_pk_fma_f32 v[30:31], v[78:79], s[0:1], v[30:31] op_sel_hi:[1,0,1] neg_lo:[0,0,1] neg_hi:[0,0,1]
	v_pk_add_f32 v[20:21], v[20:21], v[24:25]
	v_mov_b32_e32 v27, v41
	v_mov_b32_e32 v45, v31
	v_pk_add_f32 v[20:21], v[20:21], v[26:27]
	v_mov_b32_e32 v31, v43
	v_pk_add_f32 v[20:21], v[20:21], v[30:31]
	global_store_dwordx2 v[62:63], v[20:21], off
	v_pk_mul_f32 v[20:21], v[28:29], s[6:7] op_sel:[1,0] op_sel_hi:[0,0]
	v_pk_mul_f32 v[22:23], v[52:53], s[20:21] op_sel:[1,0] op_sel_hi:[0,0]
	v_pk_fma_f32 v[32:33], v[2:3], s[4:5], v[20:21] op_sel_hi:[1,0,1]
	v_pk_fma_f32 v[20:21], v[2:3], s[4:5], v[20:21] op_sel_hi:[1,0,1] neg_lo:[0,0,1] neg_hi:[0,0,1]
	s_mov_b32 s20, 0x3f68dda4
	v_mov_b32_e32 v36, v32
	v_mov_b32_e32 v37, v21
	v_pk_fma_f32 v[38:39], v[50:51], s[12:13], v[22:23] op_sel_hi:[1,0,1]
	v_pk_fma_f32 v[22:23], v[50:51], s[12:13], v[22:23] op_sel_hi:[1,0,1] neg_lo:[0,0,1] neg_hi:[0,0,1]
	v_pk_mul_f32 v[24:25], v[60:61], s[20:21] op_sel:[1,0] op_sel_hi:[0,0]
	v_pk_add_f32 v[36:37], v[36:37], v[0:1]
	v_mov_b32_e32 v40, v38
	v_mov_b32_e32 v41, v23
	v_pk_add_f32 v[36:37], v[36:37], v[40:41]
	v_pk_fma_f32 v[40:41], v[58:59], s[2:3], v[24:25] op_sel_hi:[1,0,1]
	v_pk_fma_f32 v[24:25], v[58:59], s[2:3], v[24:25] op_sel_hi:[1,0,1] neg_lo:[0,0,1] neg_hi:[0,0,1]
	v_mov_b32_e32 v44, v42
	v_pk_mul_f32 v[26:27], v[72:73], s[14:15] op_sel:[1,0] op_sel_hi:[0,0]
	v_mov_b32_e32 v42, v40
	v_mov_b32_e32 v43, v25
	;; [unrolled: 1-line block ×3, first 2 shown]
	v_pk_add_f32 v[36:37], v[36:37], v[42:43]
	v_pk_fma_f32 v[42:43], v[70:71], s[0:1], v[26:27] op_sel_hi:[1,0,1]
	v_pk_fma_f32 v[26:27], v[70:71], s[0:1], v[26:27] op_sel_hi:[1,0,1] neg_lo:[0,0,1] neg_hi:[0,0,1]
	v_pk_add_f32 v[20:21], v[20:21], v[0:1]
	v_mov_b32_e32 v23, v39
	v_pk_add_f32 v[34:35], v[34:35], v[44:45]
	v_pk_mul_f32 v[30:31], v[80:81], s[10:11] op_sel:[1,0] op_sel_hi:[0,0]
	v_mov_b32_e32 v44, v42
	v_mov_b32_e32 v45, v27
	v_pk_add_f32 v[20:21], v[20:21], v[22:23]
	v_mov_b32_e32 v25, v41
	v_pk_add_f32 v[36:37], v[36:37], v[44:45]
	v_pk_fma_f32 v[44:45], v[78:79], s[8:9], v[30:31] op_sel_hi:[1,0,1]
	v_pk_fma_f32 v[30:31], v[78:79], s[8:9], v[30:31] op_sel_hi:[1,0,1] neg_lo:[0,0,1] neg_hi:[0,0,1]
	v_pk_add_f32 v[20:21], v[20:21], v[24:25]
	v_mov_b32_e32 v27, v43
	v_mov_b32_e32 v47, v31
	v_pk_add_f32 v[20:21], v[20:21], v[26:27]
	v_mov_b32_e32 v31, v45
	v_pk_add_f32 v[20:21], v[20:21], v[30:31]
	global_store_dwordx2 v[18:19], v[20:21], off
	v_pk_mul_f32 v[18:19], v[28:29], s[10:11] op_sel:[1,0] op_sel_hi:[0,0]
	v_pk_mul_f32 v[20:21], v[52:53], s[22:23] op_sel:[1,0] op_sel_hi:[0,0]
	v_pk_fma_f32 v[30:31], v[2:3], s[8:9], v[18:19] op_sel_hi:[1,0,1]
	v_pk_fma_f32 v[18:19], v[2:3], s[8:9], v[18:19] op_sel_hi:[1,0,1] neg_lo:[0,0,1] neg_hi:[0,0,1]
	v_mov_b32_e32 v32, v30
	v_mov_b32_e32 v33, v19
	v_pk_fma_f32 v[38:39], v[50:51], s[4:5], v[20:21] op_sel_hi:[1,0,1]
	v_pk_fma_f32 v[20:21], v[50:51], s[4:5], v[20:21] op_sel_hi:[1,0,1] neg_lo:[0,0,1] neg_hi:[0,0,1]
	v_pk_mul_f32 v[22:23], v[60:61], s[14:15] op_sel:[1,0] op_sel_hi:[0,0]
	v_pk_add_f32 v[32:33], v[32:33], v[0:1]
	v_mov_b32_e32 v40, v38
	v_mov_b32_e32 v41, v21
	v_pk_add_f32 v[32:33], v[32:33], v[40:41]
	v_pk_fma_f32 v[40:41], v[58:59], s[0:1], v[22:23] op_sel_hi:[1,0,1]
	v_pk_fma_f32 v[22:23], v[58:59], s[0:1], v[22:23] op_sel_hi:[1,0,1] neg_lo:[0,0,1] neg_hi:[0,0,1]
	v_pk_mul_f32 v[24:25], v[72:73], s[16:17] op_sel:[1,0] op_sel_hi:[0,0]
	v_mov_b32_e32 v42, v40
	v_mov_b32_e32 v43, v23
	;; [unrolled: 1-line block ×3, first 2 shown]
	v_pk_add_f32 v[32:33], v[32:33], v[42:43]
	v_pk_fma_f32 v[42:43], v[70:71], s[12:13], v[24:25] op_sel_hi:[1,0,1]
	v_pk_fma_f32 v[24:25], v[70:71], s[12:13], v[24:25] op_sel_hi:[1,0,1] neg_lo:[0,0,1] neg_hi:[0,0,1]
	v_pk_add_f32 v[18:19], v[18:19], v[0:1]
	v_mov_b32_e32 v21, v39
	v_mov_b32_e32 v46, v44
	v_pk_mul_f32 v[26:27], v[80:81], s[20:21] op_sel:[1,0] op_sel_hi:[0,0]
	v_mov_b32_e32 v44, v42
	v_mov_b32_e32 v45, v25
	v_pk_add_f32 v[18:19], v[18:19], v[20:21]
	v_mov_b32_e32 v23, v41
	v_pk_add_f32 v[32:33], v[32:33], v[44:45]
	v_pk_fma_f32 v[44:45], v[78:79], s[2:3], v[26:27] op_sel_hi:[1,0,1]
	v_pk_fma_f32 v[26:27], v[78:79], s[2:3], v[26:27] op_sel_hi:[1,0,1] neg_lo:[0,0,1] neg_hi:[0,0,1]
	v_pk_add_f32 v[18:19], v[18:19], v[22:23]
	v_mov_b32_e32 v25, v43
	v_pk_add_f32 v[36:37], v[36:37], v[46:47]
	v_mov_b32_e32 v47, v27
	;; [unrolled: 2-line block ×3, first 2 shown]
	v_pk_add_f32 v[18:19], v[18:19], v[26:27]
	global_store_dwordx2 v[16:17], v[18:19], off
	v_pk_mul_f32 v[16:17], v[28:29], s[16:17] op_sel:[1,0] op_sel_hi:[0,0]
	v_pk_fma_f32 v[18:19], v[2:3], s[12:13], v[16:17] op_sel_hi:[1,0,1]
	v_pk_fma_f32 v[2:3], v[2:3], s[12:13], v[16:17] op_sel_hi:[1,0,1] neg_lo:[0,0,1] neg_hi:[0,0,1]
	v_pk_mul_f32 v[20:21], v[52:53], s[18:19] op_sel:[1,0] op_sel_hi:[0,0]
	v_mov_b32_e32 v16, v18
	v_mov_b32_e32 v17, v3
	v_pk_fma_f32 v[22:23], v[50:51], s[0:1], v[20:21] op_sel_hi:[1,0,1]
	v_pk_fma_f32 v[20:21], v[50:51], s[0:1], v[20:21] op_sel_hi:[1,0,1] neg_lo:[0,0,1] neg_hi:[0,0,1]
	v_pk_add_f32 v[16:17], v[16:17], v[0:1]
	v_mov_b32_e32 v24, v22
	v_mov_b32_e32 v25, v21
	v_pk_add_f32 v[16:17], v[16:17], v[24:25]
	v_pk_mul_f32 v[24:25], v[60:61], s[10:11] op_sel:[1,0] op_sel_hi:[0,0]
	v_pk_fma_f32 v[26:27], v[58:59], s[8:9], v[24:25] op_sel_hi:[1,0,1]
	v_pk_fma_f32 v[24:25], v[58:59], s[8:9], v[24:25] op_sel_hi:[1,0,1] neg_lo:[0,0,1] neg_hi:[0,0,1]
	v_mov_b32_e32 v28, v26
	v_mov_b32_e32 v29, v25
	v_pk_add_f32 v[16:17], v[16:17], v[28:29]
	v_pk_mul_f32 v[28:29], v[72:73], s[20:21] op_sel:[1,0] op_sel_hi:[0,0]
	v_pk_fma_f32 v[30:31], v[70:71], s[2:3], v[28:29] op_sel_hi:[1,0,1]
	v_pk_fma_f32 v[28:29], v[70:71], s[2:3], v[28:29] op_sel_hi:[1,0,1] neg_lo:[0,0,1] neg_hi:[0,0,1]
	v_mov_b32_e32 v3, v19
	v_mov_b32_e32 v38, v30
	;; [unrolled: 1-line block ×3, first 2 shown]
	v_pk_add_f32 v[0:1], v[2:3], v[0:1]
	v_mov_b32_e32 v21, v23
	v_pk_add_f32 v[16:17], v[16:17], v[38:39]
	v_pk_mul_f32 v[38:39], v[80:81], s[6:7] op_sel:[1,0] op_sel_hi:[0,0]
	v_pk_add_f32 v[0:1], v[0:1], v[20:21]
	v_mov_b32_e32 v25, v27
	v_pk_fma_f32 v[40:41], v[78:79], s[4:5], v[38:39] op_sel_hi:[1,0,1]
	v_pk_fma_f32 v[38:39], v[78:79], s[4:5], v[38:39] op_sel_hi:[1,0,1] neg_lo:[0,0,1] neg_hi:[0,0,1]
	v_pk_add_f32 v[0:1], v[0:1], v[24:25]
	v_mov_b32_e32 v29, v31
	v_mov_b32_e32 v43, v39
	v_pk_add_f32 v[0:1], v[0:1], v[28:29]
	v_mov_b32_e32 v39, v41
	v_mov_b32_e32 v86, v84
	;; [unrolled: 1-line block ×4, first 2 shown]
	v_pk_add_f32 v[0:1], v[0:1], v[38:39]
	v_pk_add_f32 v[48:49], v[48:49], v[86:87]
	;; [unrolled: 1-line block ×4, first 2 shown]
	global_store_dwordx2 v[4:5], v[0:1], off
	global_store_dwordx2 v[6:7], v[16:17], off
	;; [unrolled: 1-line block ×6, first 2 shown]
.LBB0_25:
	s_endpgm
	.section	.rodata,"a",@progbits
	.p2align	6, 0x0
	.amdhsa_kernel fft_rtc_fwd_len1716_factors_13_2_6_11_wgs_156_tpt_156_sp_ip_CI_sbrr_dirReg
		.amdhsa_group_segment_fixed_size 0
		.amdhsa_private_segment_fixed_size 0
		.amdhsa_kernarg_size 88
		.amdhsa_user_sgpr_count 2
		.amdhsa_user_sgpr_dispatch_ptr 0
		.amdhsa_user_sgpr_queue_ptr 0
		.amdhsa_user_sgpr_kernarg_segment_ptr 1
		.amdhsa_user_sgpr_dispatch_id 0
		.amdhsa_user_sgpr_kernarg_preload_length 0
		.amdhsa_user_sgpr_kernarg_preload_offset 0
		.amdhsa_user_sgpr_private_segment_size 0
		.amdhsa_uses_dynamic_stack 0
		.amdhsa_enable_private_segment 0
		.amdhsa_system_sgpr_workgroup_id_x 1
		.amdhsa_system_sgpr_workgroup_id_y 0
		.amdhsa_system_sgpr_workgroup_id_z 0
		.amdhsa_system_sgpr_workgroup_info 0
		.amdhsa_system_vgpr_workitem_id 0
		.amdhsa_next_free_vgpr 127
		.amdhsa_next_free_sgpr 48
		.amdhsa_accum_offset 128
		.amdhsa_reserve_vcc 1
		.amdhsa_float_round_mode_32 0
		.amdhsa_float_round_mode_16_64 0
		.amdhsa_float_denorm_mode_32 3
		.amdhsa_float_denorm_mode_16_64 3
		.amdhsa_dx10_clamp 1
		.amdhsa_ieee_mode 1
		.amdhsa_fp16_overflow 0
		.amdhsa_tg_split 0
		.amdhsa_exception_fp_ieee_invalid_op 0
		.amdhsa_exception_fp_denorm_src 0
		.amdhsa_exception_fp_ieee_div_zero 0
		.amdhsa_exception_fp_ieee_overflow 0
		.amdhsa_exception_fp_ieee_underflow 0
		.amdhsa_exception_fp_ieee_inexact 0
		.amdhsa_exception_int_div_zero 0
	.end_amdhsa_kernel
	.text
.Lfunc_end0:
	.size	fft_rtc_fwd_len1716_factors_13_2_6_11_wgs_156_tpt_156_sp_ip_CI_sbrr_dirReg, .Lfunc_end0-fft_rtc_fwd_len1716_factors_13_2_6_11_wgs_156_tpt_156_sp_ip_CI_sbrr_dirReg
                                        ; -- End function
	.section	.AMDGPU.csdata,"",@progbits
; Kernel info:
; codeLenInByte = 9224
; NumSgprs: 54
; NumVgprs: 127
; NumAgprs: 0
; TotalNumVgprs: 127
; ScratchSize: 0
; MemoryBound: 0
; FloatMode: 240
; IeeeMode: 1
; LDSByteSize: 0 bytes/workgroup (compile time only)
; SGPRBlocks: 6
; VGPRBlocks: 15
; NumSGPRsForWavesPerEU: 54
; NumVGPRsForWavesPerEU: 127
; AccumOffset: 128
; Occupancy: 4
; WaveLimiterHint : 1
; COMPUTE_PGM_RSRC2:SCRATCH_EN: 0
; COMPUTE_PGM_RSRC2:USER_SGPR: 2
; COMPUTE_PGM_RSRC2:TRAP_HANDLER: 0
; COMPUTE_PGM_RSRC2:TGID_X_EN: 1
; COMPUTE_PGM_RSRC2:TGID_Y_EN: 0
; COMPUTE_PGM_RSRC2:TGID_Z_EN: 0
; COMPUTE_PGM_RSRC2:TIDIG_COMP_CNT: 0
; COMPUTE_PGM_RSRC3_GFX90A:ACCUM_OFFSET: 31
; COMPUTE_PGM_RSRC3_GFX90A:TG_SPLIT: 0
	.text
	.p2alignl 6, 3212836864
	.fill 256, 4, 3212836864
	.type	__hip_cuid_8bb4b934d38ff96,@object ; @__hip_cuid_8bb4b934d38ff96
	.section	.bss,"aw",@nobits
	.globl	__hip_cuid_8bb4b934d38ff96
__hip_cuid_8bb4b934d38ff96:
	.byte	0                               ; 0x0
	.size	__hip_cuid_8bb4b934d38ff96, 1

	.ident	"AMD clang version 19.0.0git (https://github.com/RadeonOpenCompute/llvm-project roc-6.4.0 25133 c7fe45cf4b819c5991fe208aaa96edf142730f1d)"
	.section	".note.GNU-stack","",@progbits
	.addrsig
	.addrsig_sym __hip_cuid_8bb4b934d38ff96
	.amdgpu_metadata
---
amdhsa.kernels:
  - .agpr_count:     0
    .args:
      - .actual_access:  read_only
        .address_space:  global
        .offset:         0
        .size:           8
        .value_kind:     global_buffer
      - .offset:         8
        .size:           8
        .value_kind:     by_value
      - .actual_access:  read_only
        .address_space:  global
        .offset:         16
        .size:           8
        .value_kind:     global_buffer
      - .actual_access:  read_only
        .address_space:  global
        .offset:         24
        .size:           8
        .value_kind:     global_buffer
      - .offset:         32
        .size:           8
        .value_kind:     by_value
      - .actual_access:  read_only
        .address_space:  global
        .offset:         40
        .size:           8
        .value_kind:     global_buffer
      - .actual_access:  read_only
        .address_space:  global
        .offset:         48
        .size:           8
        .value_kind:     global_buffer
      - .offset:         56
        .size:           4
        .value_kind:     by_value
      - .actual_access:  read_only
        .address_space:  global
        .offset:         64
        .size:           8
        .value_kind:     global_buffer
      - .actual_access:  read_only
        .address_space:  global
        .offset:         72
        .size:           8
        .value_kind:     global_buffer
      - .address_space:  global
        .offset:         80
        .size:           8
        .value_kind:     global_buffer
    .group_segment_fixed_size: 0
    .kernarg_segment_align: 8
    .kernarg_segment_size: 88
    .language:       OpenCL C
    .language_version:
      - 2
      - 0
    .max_flat_workgroup_size: 156
    .name:           fft_rtc_fwd_len1716_factors_13_2_6_11_wgs_156_tpt_156_sp_ip_CI_sbrr_dirReg
    .private_segment_fixed_size: 0
    .sgpr_count:     54
    .sgpr_spill_count: 0
    .symbol:         fft_rtc_fwd_len1716_factors_13_2_6_11_wgs_156_tpt_156_sp_ip_CI_sbrr_dirReg.kd
    .uniform_work_group_size: 1
    .uses_dynamic_stack: false
    .vgpr_count:     127
    .vgpr_spill_count: 0
    .wavefront_size: 64
amdhsa.target:   amdgcn-amd-amdhsa--gfx950
amdhsa.version:
  - 1
  - 2
...

	.end_amdgpu_metadata
